;; amdgpu-corpus repo=ROCm/rocFFT kind=compiled arch=gfx950 opt=O3
	.text
	.amdgcn_target "amdgcn-amd-amdhsa--gfx950"
	.amdhsa_code_object_version 6
	.protected	bluestein_single_fwd_len884_dim1_dp_op_CI_CI ; -- Begin function bluestein_single_fwd_len884_dim1_dp_op_CI_CI
	.globl	bluestein_single_fwd_len884_dim1_dp_op_CI_CI
	.p2align	8
	.type	bluestein_single_fwd_len884_dim1_dp_op_CI_CI,@function
bluestein_single_fwd_len884_dim1_dp_op_CI_CI: ; @bluestein_single_fwd_len884_dim1_dp_op_CI_CI
; %bb.0:
	s_load_dwordx4 s[16:19], s[0:1], 0x28
	v_mul_u32_u24_e32 v1, 0x3c4, v0
	v_lshrrev_b32_e32 v2, 16, v1
	v_mad_u64_u32 v[234:235], s[2:3], s2, 3, v[2:3]
	v_mov_b32_e32 v235, 0
	s_waitcnt lgkmcnt(0)
	v_cmp_gt_u64_e32 vcc, s[16:17], v[234:235]
	s_and_saveexec_b64 s[2:3], vcc
	s_cbranch_execz .LBB0_18
; %bb.1:
	s_load_dwordx4 s[12:15], s[0:1], 0x18
	s_load_dwordx4 s[8:11], s[0:1], 0x0
	v_mul_lo_u16_e32 v1, 0x44, v2
	v_sub_u16_e32 v100, v0, v1
	v_mov_b32_e32 v4, s18
	s_waitcnt lgkmcnt(0)
	s_load_dwordx4 s[4:7], s[12:13], 0x0
	v_mov_b32_e32 v5, s19
	v_mov_b32_e32 v34, 0x440
	v_lshlrev_b32_e32 v236, 4, v100
	v_mov_b32_e32 v237, v235
	s_waitcnt lgkmcnt(0)
	v_mad_u64_u32 v[0:1], s[2:3], s6, v234, 0
	v_mov_b32_e32 v2, v1
	v_mad_u64_u32 v[2:3], s[2:3], s7, v234, v[2:3]
	v_mov_b32_e32 v1, v2
	v_mad_u64_u32 v[2:3], s[2:3], s4, v100, 0
	v_mov_b32_e32 v6, v3
	v_mad_u64_u32 v[6:7], s[2:3], s5, v100, v[6:7]
	v_mov_b32_e32 v3, v6
	v_lshl_add_u64 v[0:1], v[0:1], 4, v[4:5]
	v_lshl_add_u64 v[2:3], v[2:3], 4, v[0:1]
	global_load_dwordx4 v[52:55], v[2:3], off
	v_mad_u64_u32 v[2:3], s[2:3], s4, v34, v[2:3]
	s_mul_i32 s2, s5, 0x440
	s_nop 0
	v_add_u32_e32 v3, s2, v3
	v_mad_u64_u32 v[4:5], s[6:7], s4, v34, v[2:3]
	v_add_u32_e32 v5, s2, v5
	global_load_dwordx4 v[92:95], v236, s[8:9]
	global_load_dwordx4 v[84:87], v236, s[8:9] offset:1088
	global_load_dwordx4 v[60:63], v[2:3], off
	global_load_dwordx4 v[56:59], v[4:5], off
	v_mad_u64_u32 v[2:3], s[6:7], s4, v34, v[4:5]
	v_add_u32_e32 v3, s2, v3
	v_mad_u64_u32 v[4:5], s[6:7], s4, v34, v[2:3]
	v_add_u32_e32 v5, s2, v5
	global_load_dwordx4 v[38:41], v236, s[8:9] offset:2176
	global_load_dwordx4 v[42:45], v236, s[8:9] offset:3264
	v_mad_u64_u32 v[6:7], s[6:7], s4, v34, v[4:5]
	v_lshl_add_u64 v[0:1], s[8:9], 0, v[236:237]
	s_movk_i32 s3, 0x1000
	v_add_u32_e32 v7, s2, v7
	global_load_dwordx4 v[68:71], v[2:3], off
	global_load_dwordx4 v[64:67], v[4:5], off
	v_add_co_u32_e32 v14, vcc, s3, v0
	v_mad_u64_u32 v[10:11], s[6:7], s4, v34, v[6:7]
	s_nop 0
	v_addc_co_u32_e32 v15, vcc, 0, v1, vcc
	global_load_dwordx4 v[2:5], v[6:7], off
	global_load_dwordx4 v[102:105], v[14:15], off offset:256
	global_load_dwordx4 v[72:75], v[14:15], off offset:1344
	v_add_u32_e32 v11, s2, v11
	v_mad_u64_u32 v[16:17], s[6:7], s4, v34, v[10:11]
	v_add_u32_e32 v17, s2, v17
	global_load_dwordx4 v[6:9], v[10:11], off
	v_mad_u64_u32 v[18:19], s[6:7], s4, v34, v[16:17]
	global_load_dwordx4 v[10:13], v[16:17], off
	global_load_dwordx4 v[96:99], v[14:15], off offset:2432
	global_load_dwordx4 v[46:49], v[14:15], off offset:3520
	v_add_u32_e32 v19, s2, v19
	v_mad_u64_u32 v[22:23], s[6:7], s4, v34, v[18:19]
	s_movk_i32 s3, 0x2000
	v_add_u32_e32 v23, s2, v23
	global_load_dwordx4 v[14:17], v[18:19], off
	v_add_co_u32_e32 v30, vcc, s3, v0
	v_mad_u64_u32 v[26:27], s[6:7], s4, v34, v[22:23]
	s_nop 0
	v_addc_co_u32_e32 v31, vcc, 0, v1, vcc
	global_load_dwordx4 v[18:21], v[22:23], off
	global_load_dwordx4 v[110:113], v[30:31], off offset:512
	global_load_dwordx4 v[80:83], v[30:31], off offset:1600
	v_add_u32_e32 v27, s2, v27
	v_mad_u64_u32 v[32:33], s[6:7], s4, v34, v[26:27]
	v_add_u32_e32 v33, s2, v33
	global_load_dwordx4 v[22:25], v[26:27], off
	s_nop 0
	global_load_dwordx4 v[26:29], v[32:33], off
	global_load_dwordx4 v[106:109], v[30:31], off offset:2688
	global_load_dwordx4 v[76:79], v[30:31], off offset:3776
	v_mad_u64_u32 v[30:31], s[4:5], s4, v34, v[32:33]
	v_add_u32_e32 v31, s2, v31
	s_movk_i32 s2, 0x3000
	v_add_co_u32_e32 v0, vcc, s2, v0
	global_load_dwordx4 v[30:33], v[30:31], off
	s_nop 0
	v_addc_co_u32_e32 v1, vcc, 0, v1, vcc
	global_load_dwordx4 v[88:91], v[0:1], off offset:768
	s_load_dwordx2 s[12:13], s[0:1], 0x38
	s_load_dwordx4 s[4:7], s[14:15], 0x0
	s_mov_b32 s0, 0xaaaaaaab
	v_mul_hi_u32 v0, v234, s0
	v_lshrrev_b32_e32 v0, 1, v0
	v_lshl_add_u32 v0, v0, 1, v0
	v_sub_u32_e32 v0, v234, v0
	v_mul_u32_u24_e32 v0, 0x374, v0
	v_lshlrev_b32_e32 v101, 4, v0
	v_add_u32_e32 v235, v236, v101
	s_mov_b32 s26, 0x42a4c3d2
	s_mov_b32 s36, 0x66966769
	;; [unrolled: 1-line block ×11, first 2 shown]
	s_waitcnt vmcnt(24)
	v_mul_f64 v[34:35], v[54:55], v[94:95]
	v_mul_f64 v[0:1], v[52:53], v[94:95]
	v_fmac_f64_e32 v[34:35], v[52:53], v[92:93]
	v_fma_f64 v[36:37], v[54:55], v[92:93], -v[0:1]
	ds_write_b128 v235, v[34:37]
	s_waitcnt vmcnt(22)
	v_mul_f64 v[34:35], v[62:63], v[86:87]
	v_mul_f64 v[0:1], v[60:61], v[86:87]
	v_fmac_f64_e32 v[34:35], v[60:61], v[84:85]
	v_fma_f64 v[36:37], v[62:63], v[84:85], -v[0:1]
	ds_write_b128 v235, v[34:37] offset:1088
	s_waitcnt vmcnt(20)
	v_mul_f64 v[34:35], v[58:59], v[40:41]
	v_mul_f64 v[0:1], v[56:57], v[40:41]
	v_fmac_f64_e32 v[34:35], v[56:57], v[38:39]
	v_fma_f64 v[36:37], v[58:59], v[38:39], -v[0:1]
	ds_write_b128 v235, v[34:37] offset:2176
	s_waitcnt vmcnt(18)
	v_mul_f64 v[34:35], v[70:71], v[44:45]
	v_mul_f64 v[0:1], v[68:69], v[44:45]
	v_fmac_f64_e32 v[34:35], v[68:69], v[42:43]
	v_fma_f64 v[36:37], v[70:71], v[42:43], -v[0:1]
	ds_write_b128 v235, v[34:37] offset:3264
	v_accvgpr_write_b32 a34, v92
	s_waitcnt vmcnt(15)
	v_mul_f64 v[0:1], v[64:65], v[104:105]
	v_fma_f64 v[36:37], v[66:67], v[102:103], -v[0:1]
	s_waitcnt vmcnt(14)
	v_mul_f64 v[0:1], v[4:5], v[74:75]
	v_fmac_f64_e32 v[0:1], v[2:3], v[72:73]
	v_mul_f64 v[2:3], v[2:3], v[74:75]
	v_fma_f64 v[2:3], v[4:5], v[72:73], -v[2:3]
	ds_write_b128 v235, v[0:3] offset:5440
	v_mul_f64 v[34:35], v[66:67], v[104:105]
	s_waitcnt vmcnt(11)
	v_mul_f64 v[0:1], v[8:9], v[98:99]
	v_mul_f64 v[2:3], v[6:7], v[98:99]
	v_fmac_f64_e32 v[0:1], v[6:7], v[96:97]
	v_fma_f64 v[2:3], v[8:9], v[96:97], -v[2:3]
	ds_write_b128 v235, v[0:3] offset:6528
	s_waitcnt vmcnt(10)
	v_mul_f64 v[0:1], v[12:13], v[48:49]
	v_mul_f64 v[2:3], v[10:11], v[48:49]
	v_fmac_f64_e32 v[0:1], v[10:11], v[46:47]
	v_fma_f64 v[2:3], v[12:13], v[46:47], -v[2:3]
	ds_write_b128 v235, v[0:3] offset:7616
	v_accvgpr_write_b32 a26, v84
	v_fmac_f64_e32 v[34:35], v[64:65], v[102:103]
	v_accvgpr_write_b32 a14, v72
	s_waitcnt vmcnt(7)
	v_mul_f64 v[0:1], v[16:17], v[112:113]
	v_mul_f64 v[2:3], v[14:15], v[112:113]
	v_fmac_f64_e32 v[0:1], v[14:15], v[110:111]
	v_fma_f64 v[2:3], v[16:17], v[110:111], -v[2:3]
	ds_write_b128 v235, v[0:3] offset:8704
	s_waitcnt vmcnt(6)
	v_mul_f64 v[0:1], v[20:21], v[82:83]
	v_mul_f64 v[2:3], v[18:19], v[82:83]
	v_fmac_f64_e32 v[0:1], v[18:19], v[80:81]
	v_fma_f64 v[2:3], v[20:21], v[80:81], -v[2:3]
	ds_write_b128 v235, v[0:3] offset:9792
	;; [unrolled: 6-line block ×4, first 2 shown]
	s_waitcnt vmcnt(0)
	v_mul_f64 v[0:1], v[32:33], v[90:91]
	v_mul_f64 v[2:3], v[30:31], v[90:91]
	v_accvgpr_write_b32 a22, v80
	v_accvgpr_write_b32 a18, v76
	v_fmac_f64_e32 v[0:1], v[30:31], v[88:89]
	v_accvgpr_write_b32 a30, v88
	v_fma_f64 v[2:3], v[32:33], v[88:89], -v[2:3]
	v_accvgpr_write_b32 a35, v93
	v_accvgpr_write_b32 a36, v94
	;; [unrolled: 1-line block ×6, first 2 shown]
	ds_write_b128 v235, v[34:37] offset:4352
	v_accvgpr_write_b32 a15, v73
	v_accvgpr_write_b32 a16, v74
	;; [unrolled: 1-line block ×12, first 2 shown]
	ds_write_b128 v235, v[0:3] offset:13056
	s_waitcnt lgkmcnt(0)
	s_barrier
	ds_read_b128 v[84:87], v235
	ds_read_b128 v[0:3], v235 offset:1088
	ds_read_b128 v[92:95], v235 offset:2176
	;; [unrolled: 1-line block ×12, first 2 shown]
	s_waitcnt lgkmcnt(11)
	v_add_f64 v[12:13], v[84:85], v[0:1]
	v_add_f64 v[14:15], v[86:87], v[2:3]
	s_waitcnt lgkmcnt(10)
	v_add_f64 v[12:13], v[12:13], v[92:93]
	v_add_f64 v[14:15], v[14:15], v[94:95]
	;; [unrolled: 3-line block ×11, first 2 shown]
	v_accvgpr_write_b32 a2, v38
	v_accvgpr_write_b32 a6, v42
	;; [unrolled: 1-line block ×3, first 2 shown]
	s_waitcnt lgkmcnt(0)
	v_add_f64 v[52:53], v[12:13], v[8:9]
	v_add_f64 v[54:55], v[14:15], v[10:11]
	;; [unrolled: 1-line block ×4, first 2 shown]
	v_add_f64 v[0:1], v[0:1], -v[8:9]
	v_add_f64 v[2:3], v[2:3], -v[10:11]
	s_mov_b32 s0, 0xebaa3ed8
	s_mov_b32 s21, 0xbfedeba7
	s_mov_b32 s18, 0xb2365da1
	s_mov_b32 s25, 0xbfe5384d
	s_mov_b32 s22, 0xd0032e0c
	s_mov_b32 s35, 0xbfcea1e5
	s_mov_b32 s30, 0x93053d00
	v_accvgpr_write_b32 a3, v39
	v_accvgpr_write_b32 a4, v40
	;; [unrolled: 1-line block ×10, first 2 shown]
	v_mul_f64 v[8:9], v[2:3], s[16:17]
	s_mov_b32 s15, 0x3fec55a7
	v_mul_f64 v[16:17], v[0:1], s[16:17]
	v_mul_f64 v[20:21], v[2:3], s[26:27]
	s_mov_b32 s3, 0x3fe22d96
	v_mul_f64 v[24:25], v[0:1], s[26:27]
	;; [unrolled: 3-line block ×6, first 2 shown]
	v_accvgpr_write_b32 a39, v97
	v_accvgpr_write_b32 a40, v98
	;; [unrolled: 1-line block ×3, first 2 shown]
	v_fma_f64 v[10:11], v[12:13], s[14:15], -v[8:9]
	v_fma_f64 v[18:19], s[14:15], v[14:15], v[16:17]
	v_fmac_f64_e32 v[8:9], s[14:15], v[12:13]
	v_fma_f64 v[16:17], v[14:15], s[14:15], -v[16:17]
	v_fma_f64 v[22:23], v[12:13], s[2:3], -v[20:21]
	v_fma_f64 v[26:27], s[2:3], v[14:15], v[24:25]
	v_fmac_f64_e32 v[20:21], s[2:3], v[12:13]
	v_fma_f64 v[24:25], v[14:15], s[2:3], -v[24:25]
	;; [unrolled: 4-line block ×6, first 2 shown]
	v_add_f64 v[14:15], v[94:95], v[6:7]
	v_add_f64 v[6:7], v[94:95], -v[6:7]
	v_add_f64 v[10:11], v[84:85], v[10:11]
	v_add_f64 v[8:9], v[84:85], v[8:9]
	;; [unrolled: 1-line block ×13, first 2 shown]
	v_mul_f64 v[84:85], v[6:7], s[26:27]
	v_add_f64 v[18:19], v[86:87], v[18:19]
	v_add_f64 v[16:17], v[86:87], v[16:17]
	v_add_f64 v[26:27], v[86:87], v[26:27]
	v_add_f64 v[24:25], v[86:87], v[24:25]
	v_add_f64 v[34:35], v[86:87], v[34:35]
	v_add_f64 v[32:33], v[86:87], v[32:33]
	v_add_f64 v[42:43], v[86:87], v[42:43]
	v_add_f64 v[40:41], v[86:87], v[40:41]
	v_add_f64 v[50:51], v[86:87], v[50:51]
	v_add_f64 v[48:49], v[86:87], v[48:49]
	v_add_f64 v[98:99], v[86:87], v[98:99]
	v_add_f64 v[0:1], v[86:87], v[0:1]
	v_add_f64 v[4:5], v[92:93], -v[4:5]
	v_fma_f64 v[86:87], v[12:13], s[2:3], -v[84:85]
	v_add_f64 v[10:11], v[86:87], v[10:11]
	v_mul_f64 v[86:87], v[4:5], s[26:27]
	v_fmac_f64_e32 v[84:85], s[2:3], v[12:13]
	v_add_f64 v[8:9], v[84:85], v[8:9]
	v_fma_f64 v[84:85], v[14:15], s[2:3], -v[86:87]
	v_add_f64 v[16:17], v[84:85], v[16:17]
	v_mul_f64 v[84:85], v[6:7], s[20:21]
	v_fma_f64 v[92:93], s[2:3], v[14:15], v[86:87]
	v_fma_f64 v[86:87], v[12:13], s[18:19], -v[84:85]
	v_add_f64 v[22:23], v[86:87], v[22:23]
	v_mul_f64 v[86:87], v[4:5], s[20:21]
	v_fmac_f64_e32 v[84:85], s[18:19], v[12:13]
	v_add_f64 v[20:21], v[84:85], v[20:21]
	v_fma_f64 v[84:85], v[14:15], s[18:19], -v[86:87]
	v_add_f64 v[24:25], v[84:85], v[24:25]
	v_mul_f64 v[84:85], v[6:7], s[34:35]
	v_add_f64 v[18:19], v[92:93], v[18:19]
	v_fma_f64 v[92:93], s[18:19], v[14:15], v[86:87]
	v_fma_f64 v[86:87], v[12:13], s[30:31], -v[84:85]
	v_add_f64 v[30:31], v[86:87], v[30:31]
	v_mul_f64 v[86:87], v[4:5], s[34:35]
	v_fmac_f64_e32 v[84:85], s[30:31], v[12:13]
	v_add_f64 v[28:29], v[84:85], v[28:29]
	v_fma_f64 v[84:85], v[14:15], s[30:31], -v[86:87]
	s_mov_b32 s39, 0x3fe5384d
	s_mov_b32 s38, s24
	v_add_f64 v[32:33], v[84:85], v[32:33]
	v_mul_f64 v[84:85], v[6:7], s[38:39]
	v_add_f64 v[26:27], v[92:93], v[26:27]
	v_fma_f64 v[92:93], s[30:31], v[14:15], v[86:87]
	v_fma_f64 v[86:87], v[12:13], s[22:23], -v[84:85]
	v_add_f64 v[38:39], v[86:87], v[38:39]
	v_mul_f64 v[86:87], v[4:5], s[38:39]
	v_fmac_f64_e32 v[84:85], s[22:23], v[12:13]
	v_add_f64 v[36:37], v[84:85], v[36:37]
	v_fma_f64 v[84:85], v[14:15], s[22:23], -v[86:87]
	s_mov_b32 s29, 0x3fefc445
	s_mov_b32 s28, s36
	v_add_f64 v[40:41], v[84:85], v[40:41]
	v_mul_f64 v[84:85], v[6:7], s[28:29]
	v_add_f64 v[34:35], v[92:93], v[34:35]
	v_fma_f64 v[92:93], s[22:23], v[14:15], v[86:87]
	v_fma_f64 v[86:87], v[12:13], s[0:1], -v[84:85]
	s_mov_b32 s17, 0x3fddbe06
	v_add_f64 v[46:47], v[86:87], v[46:47]
	v_mul_f64 v[86:87], v[4:5], s[28:29]
	v_fmac_f64_e32 v[84:85], s[0:1], v[12:13]
	v_mul_f64 v[4:5], v[4:5], s[16:17]
	v_add_f64 v[42:43], v[92:93], v[42:43]
	v_fma_f64 v[92:93], s[0:1], v[14:15], v[86:87]
	v_add_f64 v[44:45], v[84:85], v[44:45]
	v_fma_f64 v[84:85], v[14:15], s[0:1], -v[86:87]
	v_mul_f64 v[6:7], v[6:7], s[16:17]
	v_fma_f64 v[86:87], s[14:15], v[14:15], v[4:5]
	v_fma_f64 v[4:5], v[14:15], s[14:15], -v[4:5]
	v_add_f64 v[14:15], v[82:83], -v[90:91]
	v_add_f64 v[48:49], v[84:85], v[48:49]
	v_fma_f64 v[84:85], v[12:13], s[14:15], -v[6:7]
	v_fmac_f64_e32 v[6:7], s[14:15], v[12:13]
	v_add_f64 v[0:1], v[4:5], v[0:1]
	v_add_f64 v[4:5], v[80:81], v[88:89]
	v_add_f64 v[12:13], v[80:81], -v[88:89]
	v_mul_f64 v[80:81], v[14:15], s[36:37]
	v_add_f64 v[2:3], v[6:7], v[2:3]
	v_add_f64 v[6:7], v[82:83], v[90:91]
	v_fma_f64 v[82:83], v[4:5], s[0:1], -v[80:81]
	v_add_f64 v[10:11], v[82:83], v[10:11]
	v_mul_f64 v[82:83], v[12:13], s[36:37]
	v_fmac_f64_e32 v[80:81], s[0:1], v[4:5]
	v_add_f64 v[8:9], v[80:81], v[8:9]
	v_fma_f64 v[80:81], v[6:7], s[0:1], -v[82:83]
	v_add_f64 v[16:17], v[80:81], v[16:17]
	v_mul_f64 v[80:81], v[14:15], s[34:35]
	v_fma_f64 v[88:89], s[0:1], v[6:7], v[82:83]
	v_fma_f64 v[82:83], v[4:5], s[30:31], -v[80:81]
	v_add_f64 v[22:23], v[82:83], v[22:23]
	v_mul_f64 v[82:83], v[12:13], s[34:35]
	v_fmac_f64_e32 v[80:81], s[30:31], v[4:5]
	v_add_f64 v[20:21], v[80:81], v[20:21]
	v_fma_f64 v[80:81], v[6:7], s[30:31], -v[82:83]
	s_mov_b32 s41, 0x3fedeba7
	s_mov_b32 s40, s20
	v_add_f64 v[24:25], v[80:81], v[24:25]
	v_mul_f64 v[80:81], v[14:15], s[40:41]
	v_add_f64 v[18:19], v[88:89], v[18:19]
	v_fma_f64 v[88:89], s[30:31], v[6:7], v[82:83]
	v_fma_f64 v[82:83], v[4:5], s[18:19], -v[80:81]
	v_add_f64 v[30:31], v[82:83], v[30:31]
	v_mul_f64 v[82:83], v[12:13], s[40:41]
	v_fmac_f64_e32 v[80:81], s[18:19], v[4:5]
	v_add_f64 v[28:29], v[80:81], v[28:29]
	v_fma_f64 v[80:81], v[6:7], s[18:19], -v[82:83]
	v_add_f64 v[32:33], v[80:81], v[32:33]
	v_mul_f64 v[80:81], v[14:15], s[16:17]
	v_add_f64 v[26:27], v[88:89], v[26:27]
	v_fma_f64 v[88:89], s[18:19], v[6:7], v[82:83]
	v_fma_f64 v[82:83], v[4:5], s[14:15], -v[80:81]
	v_add_f64 v[38:39], v[82:83], v[38:39]
	v_mul_f64 v[82:83], v[12:13], s[16:17]
	v_fmac_f64_e32 v[80:81], s[14:15], v[4:5]
	v_add_f64 v[36:37], v[80:81], v[36:37]
	v_fma_f64 v[80:81], v[6:7], s[14:15], -v[82:83]
	;; [unrolled: 10-line block ×3, first 2 shown]
	v_mul_f64 v[14:15], v[14:15], s[24:25]
	v_add_f64 v[48:49], v[80:81], v[48:49]
	v_fma_f64 v[80:81], v[4:5], s[22:23], -v[14:15]
	v_mul_f64 v[12:13], v[12:13], s[24:25]
	v_fmac_f64_e32 v[14:15], s[22:23], v[4:5]
	v_add_f64 v[2:3], v[14:15], v[2:3]
	v_fma_f64 v[4:5], v[6:7], s[22:23], -v[12:13]
	v_add_f64 v[14:15], v[74:75], -v[78:79]
	v_add_f64 v[42:43], v[88:89], v[42:43]
	v_fma_f64 v[88:89], s[2:3], v[6:7], v[82:83]
	v_fma_f64 v[82:83], s[22:23], v[6:7], v[12:13]
	v_add_f64 v[0:1], v[4:5], v[0:1]
	v_add_f64 v[4:5], v[72:73], v[76:77]
	v_add_f64 v[12:13], v[72:73], -v[76:77]
	v_mul_f64 v[72:73], v[14:15], s[20:21]
	v_add_f64 v[6:7], v[74:75], v[78:79]
	v_fma_f64 v[74:75], v[4:5], s[18:19], -v[72:73]
	v_add_f64 v[10:11], v[74:75], v[10:11]
	v_mul_f64 v[74:75], v[12:13], s[20:21]
	v_fmac_f64_e32 v[72:73], s[18:19], v[4:5]
	v_add_f64 v[8:9], v[72:73], v[8:9]
	v_fma_f64 v[72:73], v[6:7], s[18:19], -v[74:75]
	v_add_f64 v[16:17], v[72:73], v[16:17]
	v_mul_f64 v[72:73], v[14:15], s[38:39]
	v_fma_f64 v[76:77], s[18:19], v[6:7], v[74:75]
	v_fma_f64 v[74:75], v[4:5], s[22:23], -v[72:73]
	v_add_f64 v[22:23], v[74:75], v[22:23]
	v_mul_f64 v[74:75], v[12:13], s[38:39]
	v_fmac_f64_e32 v[72:73], s[22:23], v[4:5]
	v_add_f64 v[20:21], v[72:73], v[20:21]
	v_fma_f64 v[72:73], v[6:7], s[22:23], -v[74:75]
	v_add_f64 v[24:25], v[72:73], v[24:25]
	v_mul_f64 v[72:73], v[14:15], s[16:17]
	v_add_f64 v[18:19], v[76:77], v[18:19]
	v_fma_f64 v[76:77], s[22:23], v[6:7], v[74:75]
	v_fma_f64 v[74:75], v[4:5], s[14:15], -v[72:73]
	v_add_f64 v[30:31], v[74:75], v[30:31]
	v_mul_f64 v[74:75], v[12:13], s[16:17]
	v_fmac_f64_e32 v[72:73], s[14:15], v[4:5]
	v_add_f64 v[28:29], v[72:73], v[28:29]
	v_fma_f64 v[72:73], v[6:7], s[14:15], -v[74:75]
	v_add_f64 v[32:33], v[72:73], v[32:33]
	v_mul_f64 v[72:73], v[14:15], s[36:37]
	v_add_f64 v[26:27], v[76:77], v[26:27]
	v_fma_f64 v[76:77], s[14:15], v[6:7], v[74:75]
	v_fma_f64 v[74:75], v[4:5], s[0:1], -v[72:73]
	v_add_f64 v[38:39], v[74:75], v[38:39]
	v_mul_f64 v[74:75], v[12:13], s[36:37]
	v_fmac_f64_e32 v[72:73], s[0:1], v[4:5]
	v_add_f64 v[36:37], v[72:73], v[36:37]
	v_fma_f64 v[72:73], v[6:7], s[0:1], -v[74:75]
	s_mov_b32 s39, 0x3fcea1e5
	s_mov_b32 s38, s34
	v_add_f64 v[40:41], v[72:73], v[40:41]
	v_mul_f64 v[72:73], v[14:15], s[38:39]
	v_add_f64 v[34:35], v[76:77], v[34:35]
	v_fma_f64 v[76:77], s[0:1], v[6:7], v[74:75]
	v_fma_f64 v[74:75], v[4:5], s[30:31], -v[72:73]
	v_add_f64 v[46:47], v[74:75], v[46:47]
	v_mul_f64 v[74:75], v[12:13], s[38:39]
	v_fmac_f64_e32 v[72:73], s[30:31], v[4:5]
	s_mov_b32 s37, 0x3fea55e2
	s_mov_b32 s36, s26
	v_add_f64 v[44:45], v[72:73], v[44:45]
	v_fma_f64 v[72:73], v[6:7], s[30:31], -v[74:75]
	v_mul_f64 v[14:15], v[14:15], s[36:37]
	v_add_f64 v[48:49], v[72:73], v[48:49]
	v_fma_f64 v[72:73], v[4:5], s[2:3], -v[14:15]
	v_mul_f64 v[12:13], v[12:13], s[36:37]
	v_fmac_f64_e32 v[14:15], s[2:3], v[4:5]
	v_add_f64 v[2:3], v[14:15], v[2:3]
	v_fma_f64 v[4:5], v[6:7], s[2:3], -v[12:13]
	v_add_f64 v[14:15], v[66:67], -v[70:71]
	v_add_f64 v[42:43], v[76:77], v[42:43]
	v_fma_f64 v[76:77], s[30:31], v[6:7], v[74:75]
	v_fma_f64 v[74:75], s[2:3], v[6:7], v[12:13]
	v_add_f64 v[0:1], v[4:5], v[0:1]
	v_add_f64 v[4:5], v[64:65], v[68:69]
	v_add_f64 v[12:13], v[64:65], -v[68:69]
	v_mul_f64 v[64:65], v[14:15], s[24:25]
	v_add_f64 v[6:7], v[66:67], v[70:71]
	v_fma_f64 v[66:67], v[4:5], s[22:23], -v[64:65]
	v_add_f64 v[10:11], v[66:67], v[10:11]
	v_mul_f64 v[66:67], v[12:13], s[24:25]
	v_fmac_f64_e32 v[64:65], s[22:23], v[4:5]
	v_add_f64 v[8:9], v[64:65], v[8:9]
	v_fma_f64 v[64:65], v[6:7], s[22:23], -v[66:67]
	v_add_f64 v[16:17], v[64:65], v[16:17]
	v_mul_f64 v[64:65], v[14:15], s[28:29]
	v_fma_f64 v[68:69], s[22:23], v[6:7], v[66:67]
	v_fma_f64 v[66:67], v[4:5], s[0:1], -v[64:65]
	v_add_f64 v[22:23], v[66:67], v[22:23]
	v_mul_f64 v[66:67], v[12:13], s[28:29]
	v_fmac_f64_e32 v[64:65], s[0:1], v[4:5]
	v_add_f64 v[20:21], v[64:65], v[20:21]
	v_fma_f64 v[64:65], v[6:7], s[0:1], -v[66:67]
	v_add_f64 v[24:25], v[64:65], v[24:25]
	v_mul_f64 v[64:65], v[14:15], s[26:27]
	v_add_f64 v[18:19], v[68:69], v[18:19]
	v_fma_f64 v[68:69], s[0:1], v[6:7], v[66:67]
	v_fma_f64 v[66:67], v[4:5], s[2:3], -v[64:65]
	v_add_f64 v[30:31], v[66:67], v[30:31]
	v_mul_f64 v[66:67], v[12:13], s[26:27]
	v_fmac_f64_e32 v[64:65], s[2:3], v[4:5]
	v_add_f64 v[28:29], v[64:65], v[28:29]
	v_fma_f64 v[64:65], v[6:7], s[2:3], -v[66:67]
	v_add_f64 v[32:33], v[64:65], v[32:33]
	v_mul_f64 v[64:65], v[14:15], s[38:39]
	v_add_f64 v[26:27], v[68:69], v[26:27]
	;; [unrolled: 10-line block ×3, first 2 shown]
	v_fma_f64 v[68:69], s[30:31], v[6:7], v[66:67]
	v_fma_f64 v[66:67], v[4:5], s[14:15], -v[64:65]
	v_add_f64 v[50:51], v[92:93], v[50:51]
	v_add_f64 v[84:85], v[84:85], v[96:97]
	;; [unrolled: 1-line block ×3, first 2 shown]
	v_mul_f64 v[66:67], v[12:13], s[16:17]
	v_fmac_f64_e32 v[64:65], s[14:15], v[4:5]
	v_add_f64 v[86:87], v[86:87], v[98:99]
	v_add_f64 v[50:51], v[88:89], v[50:51]
	;; [unrolled: 1-line block ×4, first 2 shown]
	v_fma_f64 v[64:65], v[6:7], s[14:15], -v[66:67]
	v_mul_f64 v[14:15], v[14:15], s[20:21]
	v_add_f64 v[82:83], v[82:83], v[86:87]
	v_add_f64 v[50:51], v[76:77], v[50:51]
	;; [unrolled: 1-line block ×4, first 2 shown]
	v_fma_f64 v[68:69], s[14:15], v[6:7], v[66:67]
	v_add_f64 v[48:49], v[64:65], v[48:49]
	v_fma_f64 v[64:65], v[4:5], s[18:19], -v[14:15]
	v_mul_f64 v[12:13], v[12:13], s[20:21]
	v_fmac_f64_e32 v[14:15], s[18:19], v[4:5]
	v_add_f64 v[78:79], v[58:59], v[62:63]
	v_add_f64 v[58:59], v[58:59], -v[62:63]
	v_add_f64 v[74:75], v[74:75], v[82:83]
	v_add_f64 v[50:51], v[68:69], v[50:51]
	;; [unrolled: 1-line block ×3, first 2 shown]
	v_fma_f64 v[64:65], s[18:19], v[6:7], v[12:13]
	v_add_f64 v[72:73], v[14:15], v[2:3]
	v_fma_f64 v[2:3], v[6:7], s[18:19], -v[12:13]
	v_add_f64 v[76:77], v[56:57], v[60:61]
	v_add_f64 v[56:57], v[56:57], -v[60:61]
	v_mul_f64 v[4:5], v[58:59], s[34:35]
	v_add_f64 v[70:71], v[64:65], v[74:75]
	v_add_f64 v[74:75], v[2:3], v[0:1]
	v_fma_f64 v[0:1], v[76:77], s[30:31], -v[4:5]
	v_mul_f64 v[6:7], v[56:57], s[34:35]
	v_add_f64 v[0:1], v[0:1], v[10:11]
	v_fma_f64 v[2:3], s[30:31], v[78:79], v[6:7]
	v_fmac_f64_e32 v[4:5], s[30:31], v[76:77]
	v_mul_f64 v[10:11], v[56:57], s[16:17]
	v_add_f64 v[2:3], v[2:3], v[18:19]
	v_add_f64 v[64:65], v[4:5], v[8:9]
	v_fma_f64 v[4:5], v[78:79], s[30:31], -v[6:7]
	v_mul_f64 v[8:9], v[58:59], s[16:17]
	v_fma_f64 v[6:7], s[14:15], v[78:79], v[10:11]
	v_fma_f64 v[10:11], v[78:79], s[14:15], -v[10:11]
	v_mul_f64 v[18:19], v[56:57], s[24:25]
	v_add_f64 v[66:67], v[4:5], v[16:17]
	v_fma_f64 v[4:5], v[76:77], s[14:15], -v[8:9]
	v_fmac_f64_e32 v[8:9], s[14:15], v[76:77]
	v_add_f64 v[10:11], v[10:11], v[24:25]
	v_mul_f64 v[16:17], v[58:59], s[24:25]
	v_fma_f64 v[14:15], s[22:23], v[78:79], v[18:19]
	v_fma_f64 v[18:19], v[78:79], s[22:23], -v[18:19]
	v_mul_f64 v[24:25], v[58:59], s[36:37]
	v_add_f64 v[8:9], v[8:9], v[20:21]
	v_fma_f64 v[12:13], v[76:77], s[22:23], -v[16:17]
	v_fmac_f64_e32 v[16:17], s[22:23], v[76:77]
	v_add_f64 v[18:19], v[18:19], v[32:33]
	v_fma_f64 v[20:21], v[76:77], s[2:3], -v[24:25]
	v_fmac_f64_e32 v[24:25], s[2:3], v[76:77]
	v_mul_f64 v[32:33], v[58:59], s[20:21]
	v_add_f64 v[16:17], v[16:17], v[28:29]
	v_add_f64 v[24:25], v[24:25], v[36:37]
	v_fma_f64 v[28:29], v[76:77], s[18:19], -v[32:33]
	v_mul_f64 v[36:37], v[56:57], s[20:21]
	v_fmac_f64_e32 v[32:33], s[18:19], v[76:77]
	v_add_f64 v[14:15], v[14:15], v[34:35]
	v_add_f64 v[34:35], v[32:33], v[44:45]
	v_fma_f64 v[32:33], v[78:79], s[18:19], -v[36:37]
	v_add_f64 v[6:7], v[6:7], v[26:27]
	v_add_f64 v[12:13], v[12:13], v[30:31]
	v_mul_f64 v[26:27], v[56:57], s[36:37]
	v_fma_f64 v[30:31], s[18:19], v[78:79], v[36:37]
	v_add_f64 v[36:37], v[32:33], v[48:49]
	v_mul_f64 v[32:33], v[58:59], s[28:29]
	v_add_f64 v[4:5], v[4:5], v[22:23]
	v_add_f64 v[20:21], v[20:21], v[38:39]
	v_fma_f64 v[22:23], s[2:3], v[78:79], v[26:27]
	v_fma_f64 v[38:39], v[76:77], s[0:1], -v[32:33]
	v_mul_f64 v[44:45], v[56:57], s[28:29]
	v_fmac_f64_e32 v[32:33], s[0:1], v[76:77]
	v_add_f64 v[22:23], v[22:23], v[42:43]
	v_fma_f64 v[26:27], v[78:79], s[2:3], -v[26:27]
	v_add_f64 v[42:43], v[32:33], v[72:73]
	v_fma_f64 v[32:33], v[78:79], s[0:1], -v[44:45]
	v_add_f64 v[26:27], v[26:27], v[40:41]
	v_fma_f64 v[40:41], s[0:1], v[78:79], v[44:45]
	v_add_f64 v[44:45], v[32:33], v[74:75]
	v_mul_lo_u16_e32 v32, 13, v100
	v_lshl_add_u32 v32, v32, 4, v101
	v_add_f64 v[28:29], v[28:29], v[46:47]
	v_add_f64 v[30:31], v[30:31], v[50:51]
	;; [unrolled: 1-line block ×4, first 2 shown]
	s_barrier
	ds_write_b128 v32, v[52:55]
	ds_write_b128 v32, v[0:3] offset:16
	ds_write_b128 v32, v[4:7] offset:32
	;; [unrolled: 1-line block ×12, first 2 shown]
	s_waitcnt lgkmcnt(0)
	s_barrier
	ds_read_b128 v[96:99], v235
	ds_read_b128 v[92:95], v235 offset:1088
	ds_read_b128 v[132:135], v235 offset:7072
	;; [unrolled: 1-line block ×11, first 2 shown]
	v_accvgpr_write_b32 a42, v102
	v_accvgpr_write_b32 a50, v110
	;; [unrolled: 1-line block ×14, first 2 shown]
	v_cmp_gt_u16_e64 s[0:1], 17, v100
                                        ; implicit-def: $vgpr160_vgpr161
                                        ; implicit-def: $vgpr156_vgpr157
                                        ; implicit-def: $vgpr152_vgpr153
	s_and_saveexec_b64 s[2:3], s[0:1]
	s_cbranch_execz .LBB0_3
; %bb.2:
	ds_read_b128 v[64:67], v235 offset:3264
	ds_read_b128 v[152:155], v235 offset:6800
	;; [unrolled: 1-line block ×4, first 2 shown]
.LBB0_3:
	s_or_b64 exec, exec, s[2:3]
	v_accvgpr_read_b32 v4, a0
	s_movk_i32 s14, 0x4f
	v_add_u16_e32 v2, 0x44, v4
	v_mul_lo_u16_sdwa v0, v4, s14 dst_sel:DWORD dst_unused:UNUSED_PAD src0_sel:BYTE_0 src1_sel:DWORD
	v_mul_lo_u16_sdwa v3, v2, s14 dst_sel:DWORD dst_unused:UNUSED_PAD src0_sel:BYTE_0 src1_sel:DWORD
	v_lshrrev_b16_e32 v33, 10, v0
	v_lshrrev_b16_e32 v229, 10, v3
	v_mul_lo_u16_e32 v0, 13, v33
	v_mul_lo_u16_e32 v3, 13, v229
	v_sub_u16_e32 v0, v4, v0
	v_sub_u16_e32 v2, v2, v3
	v_and_b32_e32 v228, 0xff, v0
	v_and_b32_e32 v230, 0xff, v2
	v_mad_u64_u32 v[0:1], s[2:3], v228, 48, s[10:11]
	v_mad_u64_u32 v[2:3], s[2:3], v230, 48, s[10:11]
	global_load_dwordx4 v[48:51], v[0:1], off offset:16
	global_load_dwordx4 v[56:59], v[0:1], off
	global_load_dwordx4 v[60:63], v[2:3], off offset:32
	global_load_dwordx4 v[68:71], v[2:3], off offset:16
	;; [unrolled: 1-line block ×3, first 2 shown]
	global_load_dwordx4 v[76:79], v[2:3], off
	v_add_u16_e32 v0, 0x88, v4
	v_mul_lo_u16_sdwa v1, v0, s14 dst_sel:DWORD dst_unused:UNUSED_PAD src0_sel:BYTE_0 src1_sel:DWORD
	v_lshrrev_b16_e32 v231, 10, v1
	v_add_u16_e32 v2, 0xcc, v4
	v_mul_lo_u16_e32 v1, 13, v231
	v_mul_u32_u24_e32 v3, 0x4ec5, v2
	v_sub_u16_e32 v0, v0, v1
	v_lshrrev_b32_e32 v3, 18, v3
	v_and_b32_e32 v232, 0xff, v0
	v_accvgpr_write_b32 a54, v3
	v_mul_lo_u16_e32 v3, 13, v3
	v_mad_u64_u32 v[0:1], s[2:3], v232, 48, s[10:11]
	v_sub_u16_e32 v2, v2, v3
	global_load_dwordx4 v[84:87], v[0:1], off offset:16
	global_load_dwordx4 v[88:91], v[0:1], off
	v_accvgpr_write_b32 a55, v2
	v_mul_lo_u16_e32 v2, 48, v2
	v_mov_b32_e32 v3, 0
	global_load_dwordx4 v[100:103], v[0:1], off offset:32
	v_lshl_add_u64 v[0:1], s[10:11], 0, v[2:3]
	global_load_dwordx4 v[112:115], v[0:1], off
	global_load_dwordx4 v[108:111], v[0:1], off offset:16
	global_load_dwordx4 v[104:107], v[0:1], off offset:32
	s_waitcnt lgkmcnt(0)
	s_barrier
	s_waitcnt vmcnt(9)
	v_mul_f64 v[22:23], v[140:141], v[62:63]
	v_mul_f64 v[4:5], v[134:135], v[50:51]
	;; [unrolled: 1-line block ×3, first 2 shown]
	s_waitcnt vmcnt(7)
	v_mul_f64 v[8:9], v[150:151], v[74:75]
	v_mul_f64 v[2:3], v[144:145], v[58:59]
	;; [unrolled: 1-line block ×3, first 2 shown]
	v_fma_f64 v[0:1], v[144:145], v[56:57], -v[0:1]
	v_fma_f64 v[4:5], v[132:133], v[48:49], -v[4:5]
	v_fma_f64 v[8:9], v[148:149], v[72:73], -v[8:9]
	v_mul_f64 v[6:7], v[132:133], v[50:51]
	s_waitcnt vmcnt(6)
	v_mul_f64 v[14:15], v[136:137], v[78:79]
	v_mul_f64 v[16:17], v[118:119], v[70:71]
	v_fmac_f64_e32 v[2:3], v[146:147], v[56:57]
	v_accvgpr_write_b32 a109, v51
	v_fmac_f64_e32 v[10:11], v[150:151], v[72:73]
	v_add_f64 v[4:5], v[96:97], -v[4:5]
	v_add_f64 v[8:9], v[0:1], -v[8:9]
	v_mul_f64 v[12:13], v[138:139], v[78:79]
	v_mul_f64 v[20:21], v[142:143], v[62:63]
	v_accvgpr_write_b32 a108, v50
	v_accvgpr_write_b32 a107, v49
	v_accvgpr_write_b32 a106, v48
	v_fmac_f64_e32 v[6:7], v[134:135], v[48:49]
	v_fmac_f64_e32 v[14:15], v[138:139], v[76:77]
	v_fma_f64 v[16:17], v[116:117], v[68:69], -v[16:17]
	v_fmac_f64_e32 v[22:23], v[142:143], v[60:61]
	v_fma_f64 v[50:51], v[96:97], 2.0, -v[4:5]
	v_add_f64 v[10:11], v[2:3], -v[10:11]
	v_fma_f64 v[0:1], v[0:1], 2.0, -v[8:9]
	v_mul_f64 v[18:19], v[116:117], v[70:71]
	s_waitcnt vmcnt(4)
	v_mul_f64 v[26:27], v[120:121], v[90:91]
	v_mul_f64 v[28:29], v[126:127], v[86:87]
	s_waitcnt vmcnt(3)
	v_mul_f64 v[36:37], v[128:129], v[102:103]
	v_fma_f64 v[12:13], v[136:137], v[76:77], -v[12:13]
	v_fma_f64 v[20:21], v[140:141], v[60:61], -v[20:21]
	v_add_f64 v[6:7], v[98:99], -v[6:7]
	v_fma_f64 v[2:3], v[2:3], 2.0, -v[10:11]
	v_add_f64 v[164:165], v[50:51], -v[0:1]
	v_add_f64 v[172:173], v[4:5], -v[10:11]
	;; [unrolled: 1-line block ×4, first 2 shown]
	v_mul_f64 v[24:25], v[122:123], v[90:91]
	v_mul_f64 v[34:35], v[130:131], v[102:103]
	v_fmac_f64_e32 v[18:19], v[118:119], v[68:69]
	v_fmac_f64_e32 v[26:27], v[122:123], v[88:89]
	v_fma_f64 v[28:29], v[124:125], v[84:85], -v[28:29]
	v_fmac_f64_e32 v[36:37], v[130:131], v[100:101]
	v_fma_f64 v[96:97], v[98:99], 2.0, -v[6:7]
	v_add_f64 v[174:175], v[6:7], v[8:9]
	v_add_f64 v[8:9], v[12:13], -v[20:21]
	v_add_f64 v[192:193], v[0:1], -v[10:11]
	s_waitcnt vmcnt(2)
	v_mul_f64 v[40:41], v[152:153], v[114:115]
	s_waitcnt vmcnt(1)
	v_mul_f64 v[42:43], v[158:159], v[110:111]
	v_fma_f64 v[24:25], v[120:121], v[88:89], -v[24:25]
	v_fma_f64 v[34:35], v[128:129], v[100:101], -v[34:35]
	s_waitcnt vmcnt(0)
	v_mul_f64 v[48:49], v[160:161], v[106:107]
	v_add_f64 v[166:167], v[96:97], -v[2:3]
	v_fma_f64 v[168:169], v[4:5], 2.0, -v[172:173]
	v_add_f64 v[2:3], v[94:95], -v[18:19]
	v_fma_f64 v[4:5], v[92:93], 2.0, -v[0:1]
	v_fma_f64 v[12:13], v[12:13], 2.0, -v[8:9]
	;; [unrolled: 1-line block ×4, first 2 shown]
	v_add_f64 v[0:1], v[80:81], -v[28:29]
	v_add_f64 v[10:11], v[26:27], -v[36:37]
	v_fmac_f64_e32 v[40:41], v[154:155], v[112:113]
	v_fma_f64 v[42:43], v[156:157], v[108:109], -v[42:43]
	v_fmac_f64_e32 v[48:49], v[162:163], v[104:105]
	v_fma_f64 v[170:171], v[6:7], 2.0, -v[174:175]
	v_fma_f64 v[6:7], v[94:95], 2.0, -v[2:3]
	v_add_f64 v[184:185], v[4:5], -v[12:13]
	v_add_f64 v[194:195], v[2:3], v[8:9]
	v_add_f64 v[8:9], v[24:25], -v[34:35]
	v_add_f64 v[208:209], v[0:1], -v[10:11]
	;; [unrolled: 1-line block ×3, first 2 shown]
	v_fma_f64 v[176:177], v[4:5], 2.0, -v[184:185]
	v_fma_f64 v[4:5], v[80:81], 2.0, -v[0:1]
	;; [unrolled: 1-line block ×5, first 2 shown]
	v_add_f64 v[0:1], v[64:65], -v[42:43]
	v_add_f64 v[10:11], v[40:41], -v[48:49]
	v_mul_f64 v[30:31], v[124:125], v[86:87]
	v_add_f64 v[200:201], v[4:5], -v[12:13]
	v_add_f64 v[224:225], v[0:1], -v[10:11]
	v_fmac_f64_e32 v[30:31], v[126:127], v[84:85]
	v_fma_f64 v[196:197], v[4:5], 2.0, -v[200:201]
	v_fma_f64 v[4:5], v[64:65], 2.0, -v[0:1]
	;; [unrolled: 1-line block ×3, first 2 shown]
	v_mul_u32_u24_e32 v0, 52, v33
	v_mul_f64 v[38:39], v[154:155], v[114:115]
	v_mul_f64 v[44:45], v[156:157], v[110:111]
	;; [unrolled: 1-line block ×3, first 2 shown]
	v_fma_f64 v[190:191], v[2:3], 2.0, -v[194:195]
	v_add_f64 v[2:3], v[82:83], -v[30:31]
	v_add_u32_e32 v0, v0, v228
	v_accvgpr_read_b32 v118, a1
	v_fma_f64 v[38:39], v[152:153], v[112:113], -v[38:39]
	v_fmac_f64_e32 v[44:45], v[158:159], v[108:109]
	v_fma_f64 v[46:47], v[160:161], v[104:105], -v[46:47]
	v_fma_f64 v[178:179], v[6:7], 2.0, -v[186:187]
	v_fma_f64 v[6:7], v[82:83], 2.0, -v[2:3]
	v_add_f64 v[210:211], v[2:3], v[8:9]
	v_lshl_add_u32 v119, v0, 4, v118
	v_mul_u32_u24_e32 v0, 52, v229
	v_add_f64 v[202:203], v[6:7], -v[14:15]
	v_fma_f64 v[206:207], v[2:3], 2.0, -v[210:211]
	v_add_f64 v[2:3], v[66:67], -v[44:45]
	v_add_f64 v[8:9], v[38:39], -v[46:47]
	v_add_u32_e32 v0, v0, v230
	v_fma_f64 v[198:199], v[6:7], 2.0, -v[202:203]
	v_fma_f64 v[6:7], v[66:67], 2.0, -v[2:3]
	;; [unrolled: 1-line block ×4, first 2 shown]
	v_lshl_add_u32 v33, v0, 4, v118
	v_mul_u32_u24_e32 v0, 52, v231
	v_add_f64 v[220:221], v[4:5], -v[12:13]
	v_add_f64 v[222:223], v[6:7], -v[14:15]
	v_add_f64 v[226:227], v[2:3], v[8:9]
	v_add_u32_e32 v0, v0, v232
	v_fma_f64 v[180:181], v[50:51], 2.0, -v[164:165]
	v_fma_f64 v[182:183], v[96:97], 2.0, -v[166:167]
	;; [unrolled: 1-line block ×5, first 2 shown]
	v_lshl_add_u32 v132, v0, 4, v118
	ds_write_b128 v119, v[180:183]
	ds_write_b128 v119, v[168:171] offset:208
	ds_write_b128 v119, v[164:167] offset:416
	ds_write_b128 v119, v[172:175] offset:624
	ds_write_b128 v33, v[176:179]
	ds_write_b128 v33, v[188:191] offset:208
	ds_write_b128 v33, v[184:187] offset:416
	ds_write_b128 v33, v[192:195] offset:624
	;; [unrolled: 4-line block ×3, first 2 shown]
	s_and_saveexec_b64 s[2:3], s[0:1]
	s_cbranch_execz .LBB0_5
; %bb.4:
	v_accvgpr_read_b32 v0, a54
	v_accvgpr_read_b32 v1, a55
	v_mad_legacy_u16 v0, v0, 52, v1
	v_lshl_add_u32 v0, v0, 4, v118
	ds_write_b128 v0, v[212:215]
	ds_write_b128 v0, v[216:219] offset:208
	ds_write_b128 v0, v[220:223] offset:416
	;; [unrolled: 1-line block ×3, first 2 shown]
.LBB0_5:
	s_or_b64 exec, exec, s[2:3]
	v_accvgpr_read_b32 v0, a0
	v_cmp_gt_u16_e64 s[2:3], 52, v0
	s_waitcnt lgkmcnt(0)
	s_barrier
	s_waitcnt lgkmcnt(0)
                                        ; implicit-def: $vgpr228_vgpr229
	s_and_saveexec_b64 s[14:15], s[2:3]
	s_cbranch_execz .LBB0_7
; %bb.6:
	ds_read_b128 v[180:183], v235
	ds_read_b128 v[168:171], v235 offset:832
	ds_read_b128 v[164:167], v235 offset:1664
	ds_read_b128 v[172:175], v235 offset:2496
	ds_read_b128 v[176:179], v235 offset:3328
	ds_read_b128 v[188:191], v235 offset:4160
	ds_read_b128 v[184:187], v235 offset:4992
	ds_read_b128 v[192:195], v235 offset:5824
	ds_read_b128 v[196:199], v235 offset:6656
	ds_read_b128 v[204:207], v235 offset:7488
	ds_read_b128 v[200:203], v235 offset:8320
	ds_read_b128 v[208:211], v235 offset:9152
	ds_read_b128 v[212:215], v235 offset:9984
	ds_read_b128 v[216:219], v235 offset:10816
	ds_read_b128 v[220:223], v235 offset:11648
	ds_read_b128 v[224:227], v235 offset:12480
	ds_read_b128 v[228:231], v235 offset:13312
.LBB0_7:
	s_or_b64 exec, exec, s[14:15]
	s_movk_i32 s14, 0xfcc0
	v_mov_b32_e32 v237, 0
	s_mov_b32 s15, -1
	v_lshl_add_u64 v[0:1], v[236:237], 0, s[14:15]
	v_cndmask_b32_e64 v1, v1, 0, s[2:3]
	v_cndmask_b32_e64 v0, v0, v236, s[2:3]
	v_lshl_add_u64 v[0:1], v[0:1], 4, s[10:11]
	global_load_dwordx4 v[120:123], v[0:1], off offset:624
	global_load_dwordx4 v[124:127], v[0:1], off offset:640
	;; [unrolled: 1-line block ×16, first 2 shown]
	s_mov_b32 s28, 0x5d8e7cdc
	s_mov_b32 s29, 0xbfd71e95
	;; [unrolled: 1-line block ×46, first 2 shown]
	s_waitcnt vmcnt(15) lgkmcnt(14)
	v_mul_f64 v[10:11], v[170:171], v[122:123]
	v_mul_f64 v[238:239], v[168:169], v[122:123]
	s_waitcnt vmcnt(14)
	v_mul_f64 v[240:241], v[164:165], v[126:127]
	v_fma_f64 v[54:55], v[168:169], v[120:121], -v[10:11]
	s_waitcnt vmcnt(11) lgkmcnt(11)
	v_mul_f64 v[20:21], v[190:191], v[140:141]
	v_fmac_f64_e32 v[238:239], v[170:171], v[120:121]
	v_mul_f64 v[12:13], v[166:167], v[126:127]
	s_waitcnt vmcnt(8)
	v_accvgpr_write_b32 a102, v146
	s_waitcnt lgkmcnt(8)
	v_mul_f64 v[26:27], v[198:199], v[148:149]
	v_mul_f64 v[252:253], v[196:197], v[148:149]
	v_accvgpr_write_b32 a103, v147
	v_accvgpr_write_b32 a104, v148
	;; [unrolled: 1-line block ×3, first 2 shown]
	s_waitcnt vmcnt(5)
	v_mov_b64_e32 v[148:149], v[156:157]
	s_waitcnt lgkmcnt(5)
	v_mul_f64 v[34:35], v[210:211], v[158:159]
	v_mul_f64 v[0:1], v[208:209], v[158:159]
	s_waitcnt vmcnt(0) lgkmcnt(0)
	v_mul_f64 v[44:45], v[230:231], v[48:49]
	v_mul_f64 v[16:17], v[228:229], v[48:49]
	v_mov_b64_e32 v[150:151], v[158:159]
	v_mov_b64_e32 v[156:157], v[160:161]
	v_mul_f64 v[30:31], v[202:203], v[162:163]
	v_mul_f64 v[232:233], v[200:201], v[162:163]
	;; [unrolled: 1-line block ×4, first 2 shown]
	v_mov_b64_e32 v[158:159], v[162:163]
	v_mov_b64_e32 v[162:163], v[52:53]
	v_fma_f64 v[10:11], v[228:229], v[46:47], -v[44:45]
	v_fmac_f64_e32 v[16:17], v[230:231], v[46:47]
	v_mul_f64 v[28:29], v[206:207], v[52:53]
	v_mul_f64 v[36:37], v[214:215], v[98:99]
	v_fmac_f64_e32 v[240:241], v[166:167], v[124:125]
	v_fma_f64 v[168:169], v[188:189], v[138:139], -v[20:21]
	v_mov_b64_e32 v[160:161], v[50:51]
	v_fmac_f64_e32 v[232:233], v[202:203], v[156:157]
	v_fma_f64 v[202:203], v[208:209], v[148:149], -v[34:35]
	v_fma_f64 v[20:21], v[224:225], v[80:81], -v[42:43]
	v_fmac_f64_e32 v[8:9], v[226:227], v[80:81]
	v_accvgpr_write_b32 a127, v11
	v_add_f64 v[208:209], v[238:239], -v[16:17]
	v_mul_f64 v[22:23], v[186:187], v[66:67]
	v_mul_f64 v[254:255], v[204:205], v[52:53]
	;; [unrolled: 1-line block ×4, first 2 shown]
	v_fma_f64 v[116:117], v[164:165], v[124:125], -v[12:13]
	v_fma_f64 v[52:53], v[204:205], v[160:161], -v[28:29]
	v_fmac_f64_e32 v[0:1], v[210:211], v[148:149]
	v_fma_f64 v[204:205], v[212:213], v[96:97], -v[36:37]
	v_add_f64 v[228:229], v[54:55], v[10:11]
	v_accvgpr_write_b32 a126, v10
	v_add_f64 v[212:213], v[54:55], -v[10:11]
	v_mul_f64 v[10:11], v[208:209], s[28:29]
	v_accvgpr_write_b32 a125, v21
	v_add_f64 v[210:211], v[240:241], -v[8:9]
	v_mul_f64 v[6:7], v[220:221], v[144:145]
	v_fma_f64 v[170:171], v[184:185], v[64:65], -v[22:23]
	v_fmac_f64_e32 v[2:3], v[214:215], v[96:97]
	v_fma_f64 v[22:23], v[220:221], v[142:143], -v[40:41]
	v_mul_f64 v[12:13], v[212:213], s[28:29]
	v_accvgpr_write_b32 a129, v11
	v_add_f64 v[220:221], v[116:117], v[20:21]
	v_accvgpr_write_b32 a124, v20
	v_add_f64 v[214:215], v[116:117], -v[20:21]
	v_mul_f64 v[20:21], v[210:211], s[36:37]
	v_accvgpr_write_b32 a85, v67
	v_add_f64 v[230:231], v[238:239], v[16:17]
	v_accvgpr_write_b32 a128, v10
	v_fma_f64 v[10:11], s[10:11], v[228:229], v[10:11]
	v_accvgpr_write_b32 a131, v13
	v_accvgpr_write_b32 a135, v21
	v_mul_f64 v[14:15], v[174:175], v[130:131]
	v_mul_f64 v[248:249], v[184:185], v[66:67]
	v_accvgpr_write_b32 a84, v66
	v_accvgpr_write_b32 a83, v65
	;; [unrolled: 1-line block ×3, first 2 shown]
	v_fma_f64 v[66:67], v[196:197], v[146:147], -v[26:27]
	v_fmac_f64_e32 v[6:7], v[222:223], v[142:143]
	v_add_f64 v[10:11], v[180:181], v[10:11]
	v_accvgpr_write_b32 a130, v12
	v_fma_f64 v[12:13], v[230:231], s[10:11], -v[12:13]
	v_add_f64 v[222:223], v[240:241], v[8:9]
	v_mul_f64 v[26:27], v[214:215], s[36:37]
	v_accvgpr_write_b32 a134, v20
	v_fma_f64 v[20:21], s[16:17], v[220:221], v[20:21]
	v_mul_f64 v[18:19], v[178:179], v[136:137]
	v_fma_f64 v[164:165], v[172:173], v[128:129], -v[14:15]
	v_add_f64 v[12:13], v[182:183], v[12:13]
	v_mul_f64 v[14:15], v[208:209], s[36:37]
	v_add_f64 v[10:11], v[20:21], v[10:11]
	v_fma_f64 v[20:21], v[222:223], s[16:17], -v[26:27]
	v_fma_f64 v[166:167], v[176:177], v[134:135], -v[18:19]
	v_mul_f64 v[18:19], v[212:213], s[36:37]
	v_accvgpr_write_b32 a133, v15
	v_add_f64 v[12:13], v[20:21], v[12:13]
	v_mul_f64 v[20:21], v[210:211], s[42:43]
	v_mul_f64 v[242:243], v[172:173], v[130:131]
	v_accvgpr_write_b32 a132, v14
	v_fma_f64 v[14:15], s[16:17], v[228:229], v[14:15]
	v_accvgpr_write_b32 a137, v19
	v_accvgpr_write_b32 a139, v27
	v_accvgpr_write_b32 a141, v21
	v_mul_f64 v[4:5], v[216:217], v[154:155]
	v_fmac_f64_e32 v[242:243], v[174:175], v[128:129]
	v_add_f64 v[14:15], v[180:181], v[14:15]
	v_accvgpr_write_b32 a136, v18
	v_fma_f64 v[18:19], v[230:231], s[16:17], -v[18:19]
	v_accvgpr_write_b32 a138, v26
	v_mul_f64 v[26:27], v[214:215], s[42:43]
	v_accvgpr_write_b32 a140, v20
	v_fma_f64 v[20:21], s[18:19], v[220:221], v[20:21]
	v_mul_f64 v[38:39], v[218:219], v[154:155]
	v_fmac_f64_e32 v[4:5], v[218:219], v[152:153]
	v_add_f64 v[18:19], v[182:183], v[18:19]
	v_add_f64 v[20:21], v[20:21], v[14:15]
	v_fma_f64 v[14:15], v[222:223], s[18:19], -v[26:27]
	v_add_f64 v[218:219], v[242:243], -v[6:7]
	v_add_f64 v[28:29], v[14:15], v[18:19]
	v_mul_f64 v[14:15], v[218:219], s[34:35]
	v_fmac_f64_e32 v[254:255], v[206:207], v[160:161]
	v_fma_f64 v[206:207], v[216:217], v[152:153], -v[38:39]
	v_add_f64 v[36:37], v[164:165], v[22:23]
	v_add_f64 v[216:217], v[164:165], -v[22:23]
	v_accvgpr_write_b32 a143, v15
	v_mul_f64 v[244:245], v[176:177], v[136:137]
	v_add_f64 v[38:39], v[242:243], v[6:7]
	v_mul_f64 v[18:19], v[216:217], s[34:35]
	v_accvgpr_write_b32 a142, v14
	v_fma_f64 v[14:15], s[14:15], v[36:37], v[14:15]
	v_fmac_f64_e32 v[244:245], v[178:179], v[134:135]
	v_add_f64 v[10:11], v[14:15], v[10:11]
	v_fma_f64 v[14:15], v[38:39], s[14:15], -v[18:19]
	v_accvgpr_write_b32 a147, v19
	v_add_f64 v[12:13], v[14:15], v[12:13]
	v_add_f64 v[14:15], v[244:245], -v[4:5]
	v_mul_f64 v[246:247], v[188:189], v[140:141]
	v_accvgpr_write_b32 a123, v23
	v_accvgpr_write_b32 a146, v18
	v_add_f64 v[226:227], v[166:167], -v[206:207]
	v_mul_f64 v[18:19], v[14:15], s[42:43]
	v_fmac_f64_e32 v[246:247], v[190:191], v[138:139]
	v_accvgpr_write_b32 a122, v22
	v_add_f64 v[40:41], v[166:167], v[206:207]
	v_mul_f64 v[22:23], v[226:227], s[42:43]
	v_accvgpr_write_b32 a151, v19
	v_add_f64 v[42:43], v[244:245], v[4:5]
	v_accvgpr_write_b32 a150, v18
	v_fma_f64 v[18:19], s[18:19], v[40:41], v[18:19]
	v_accvgpr_write_b32 a153, v23
	v_add_f64 v[188:189], v[246:247], -v[2:3]
	v_add_f64 v[10:11], v[18:19], v[10:11]
	v_accvgpr_write_b32 a152, v22
	v_fma_f64 v[18:19], v[42:43], s[18:19], -v[22:23]
	v_mul_f64 v[22:23], v[188:189], s[44:45]
	v_accvgpr_write_b32 a81, v49
	v_accvgpr_write_b32 a145, v27
	v_add_f64 v[12:13], v[18:19], v[12:13]
	v_add_f64 v[44:45], v[168:169], v[204:205]
	v_add_f64 v[18:19], v[168:169], -v[204:205]
	v_accvgpr_write_b32 a155, v23
	v_fmac_f64_e32 v[248:249], v[186:187], v[64:65]
	v_accvgpr_write_b32 a80, v48
	v_accvgpr_write_b32 a79, v47
	;; [unrolled: 1-line block ×4, first 2 shown]
	v_add_f64 v[46:47], v[246:247], v[2:3]
	v_mul_f64 v[26:27], v[18:19], s[44:45]
	v_accvgpr_write_b32 a154, v22
	v_fma_f64 v[22:23], s[24:25], v[44:45], v[22:23]
	v_add_f64 v[10:11], v[22:23], v[10:11]
	v_fma_f64 v[22:23], v[46:47], s[24:25], -v[26:27]
	v_add_f64 v[34:35], v[248:249], -v[0:1]
	v_accvgpr_write_b32 a157, v27
	v_add_f64 v[12:13], v[22:23], v[12:13]
	v_mul_f64 v[22:23], v[34:35], s[38:39]
	v_mul_f64 v[24:25], v[194:195], v[94:95]
	v_accvgpr_write_b32 a156, v26
	v_add_f64 v[48:49], v[170:171], v[202:203]
	v_add_f64 v[26:27], v[170:171], -v[202:203]
	v_accvgpr_write_b32 a159, v23
	v_mul_f64 v[250:251], v[192:193], v[94:95]
	v_fma_f64 v[24:25], v[192:193], v[92:93], -v[24:25]
	v_fmac_f64_e32 v[252:253], v[198:199], v[146:147]
	v_fma_f64 v[146:147], v[200:201], v[156:157], -v[30:31]
	v_add_f64 v[50:51], v[248:249], v[0:1]
	v_mul_f64 v[30:31], v[26:27], s[38:39]
	v_accvgpr_write_b32 a158, v22
	v_fma_f64 v[22:23], s[22:23], v[48:49], v[22:23]
	v_fmac_f64_e32 v[250:251], v[194:195], v[92:93]
	v_add_f64 v[22:23], v[22:23], v[10:11]
	v_accvgpr_write_b32 a161, v31
	v_fma_f64 v[10:11], v[50:51], s[22:23], -v[30:31]
	v_accvgpr_write_b32 a119, v25
	v_accvgpr_write_b32 a160, v30
	v_add_f64 v[30:31], v[10:11], v[12:13]
	v_add_f64 v[12:13], v[24:25], v[146:147]
	v_accvgpr_write_b32 a118, v24
	v_add_f64 v[186:187], v[24:25], -v[146:147]
	v_add_f64 v[24:25], v[250:251], -v[232:233]
	v_mul_f64 v[64:65], v[24:25], s[50:51]
	v_accvgpr_write_b32 a89, v83
	v_accvgpr_write_b32 a163, v65
	v_accvgpr_write_b32 a88, v82
	v_accvgpr_write_b32 a87, v81
	v_accvgpr_write_b32 a86, v80
	v_add_f64 v[10:11], v[250:251], v[232:233]
	v_mul_f64 v[82:83], v[186:187], s[50:51]
	v_accvgpr_write_b32 a162, v64
	v_fma_f64 v[64:65], s[26:27], v[12:13], v[64:65]
	v_add_f64 v[64:65], v[64:65], v[22:23]
	v_fma_f64 v[22:23], v[10:11], s[26:27], -v[82:83]
	v_accvgpr_write_b32 a121, v67
	v_add_f64 v[192:193], v[252:253], -v[254:255]
	v_add_f64 v[30:31], v[22:23], v[30:31]
	v_add_f64 v[22:23], v[66:67], v[52:53]
	v_accvgpr_write_b32 a120, v66
	v_add_f64 v[196:197], v[66:67], -v[52:53]
	v_mul_f64 v[66:67], v[192:193], s[40:41]
	v_accvgpr_write_b32 a165, v83
	v_accvgpr_write_b32 a167, v67
	;; [unrolled: 1-line block ×4, first 2 shown]
	v_add_f64 v[184:185], v[252:253], v[254:255]
	v_mul_f64 v[82:83], v[196:197], s[40:41]
	v_accvgpr_write_b32 a166, v66
	v_fma_f64 v[66:67], s[20:21], v[22:23], v[66:67]
	v_accvgpr_write_b32 a99, v143
	v_accvgpr_write_b32 a100, v144
	;; [unrolled: 1-line block ×3, first 2 shown]
	v_mul_f64 v[80:81], v[218:219], s[38:39]
	v_add_f64 v[142:143], v[66:67], v[64:65]
	v_fma_f64 v[64:65], v[184:185], s[20:21], -v[82:83]
	v_add_f64 v[144:145], v[64:65], v[30:31]
	v_mul_f64 v[64:65], v[216:217], s[38:39]
	v_fma_f64 v[30:31], s[22:23], v[36:37], v[80:81]
	v_add_f64 v[20:21], v[30:31], v[20:21]
	v_fma_f64 v[30:31], v[38:39], s[22:23], -v[64:65]
	v_add_f64 v[28:29], v[30:31], v[28:29]
	v_mul_f64 v[30:31], v[14:15], s[40:41]
	v_accvgpr_write_b32 a171, v31
	v_accvgpr_write_b32 a170, v30
	v_fma_f64 v[30:31], s[20:21], v[40:41], v[30:31]
	v_add_f64 v[20:21], v[30:31], v[20:21]
	v_mul_f64 v[30:31], v[226:227], s[40:41]
	v_accvgpr_write_b32 a181, v31
	v_accvgpr_write_b32 a180, v30
	v_fma_f64 v[30:31], v[42:43], s[20:21], -v[30:31]
	v_add_f64 v[28:29], v[30:31], v[28:29]
	v_mul_f64 v[30:31], v[188:189], s[46:47]
	v_accvgpr_write_b32 a175, v31
	v_accvgpr_write_b32 a174, v30
	v_fma_f64 v[30:31], s[26:27], v[44:45], v[30:31]
	v_add_f64 v[20:21], v[30:31], v[20:21]
	v_mul_f64 v[30:31], v[18:19], s[46:47]
	v_accvgpr_write_b32 a185, v31
	v_accvgpr_write_b32 a184, v30
	;; [unrolled: 10-line block ×4, first 2 shown]
	v_fma_f64 v[30:31], v[10:11], s[14:15], -v[30:31]
	v_add_f64 v[28:29], v[30:31], v[28:29]
	v_mul_f64 v[30:31], v[192:193], s[54:55]
	v_accvgpr_write_b32 a183, v31
	v_accvgpr_write_b32 a114, v168
	;; [unrolled: 1-line block ×3, first 2 shown]
	v_fma_f64 v[30:31], s[10:11], v[22:23], v[30:31]
	v_accvgpr_write_b32 a115, v169
	v_add_f64 v[168:169], v[30:31], v[20:21]
	v_mul_f64 v[20:21], v[196:197], s[54:55]
	v_accvgpr_write_b32 a191, v21
	v_accvgpr_write_b32 a116, v170
	;; [unrolled: 1-line block ×3, first 2 shown]
	v_fma_f64 v[20:21], v[184:185], s[10:11], -v[20:21]
	v_accvgpr_write_b32 a117, v171
	v_add_f64 v[170:171], v[20:21], v[28:29]
	v_mul_f64 v[20:21], v[208:209], s[34:35]
	v_accvgpr_write_b32 a193, v21
	v_mul_f64 v[28:29], v[210:211], s[38:39]
	v_accvgpr_write_b32 a192, v20
	v_fma_f64 v[20:21], s[14:15], v[228:229], v[20:21]
	v_accvgpr_write_b32 a201, v29
	v_add_f64 v[20:21], v[180:181], v[20:21]
	v_accvgpr_write_b32 a200, v28
	v_fma_f64 v[28:29], s[22:23], v[220:221], v[28:29]
	v_add_f64 v[20:21], v[28:29], v[20:21]
	v_mul_f64 v[28:29], v[212:213], s[34:35]
	v_accvgpr_write_b32 a215, v29
	v_mul_f64 v[30:31], v[214:215], s[38:39]
	v_accvgpr_write_b32 a214, v28
	v_fma_f64 v[28:29], v[230:231], s[14:15], -v[28:29]
	v_accvgpr_write_b32 a219, v31
	v_add_f64 v[28:29], v[182:183], v[28:29]
	v_accvgpr_write_b32 a218, v30
	v_fma_f64 v[30:31], v[222:223], s[22:23], -v[30:31]
	v_add_f64 v[28:29], v[30:31], v[28:29]
	v_mul_f64 v[30:31], v[218:219], s[58:59]
	v_accvgpr_write_b32 a207, v31
	v_accvgpr_write_b32 a206, v30
	v_fma_f64 v[30:31], s[20:21], v[36:37], v[30:31]
	v_add_f64 v[20:21], v[30:31], v[20:21]
	v_mul_f64 v[30:31], v[216:217], s[58:59]
	v_accvgpr_write_b32 a227, v31
	v_accvgpr_write_b32 a226, v30
	v_fma_f64 v[30:31], v[38:39], s[20:21], -v[30:31]
	v_add_f64 v[28:29], v[30:31], v[28:29]
	v_mul_f64 v[30:31], v[14:15], s[48:49]
	v_accvgpr_write_b32 a209, v31
	v_accvgpr_write_b32 a208, v30
	v_fma_f64 v[30:31], s[24:25], v[40:41], v[30:31]
	v_add_f64 v[20:21], v[30:31], v[20:21]
	v_mul_f64 v[30:31], v[226:227], s[48:49]
	v_accvgpr_write_b32 a235, v31
	;; [unrolled: 10-line block ×5, first 2 shown]
	v_accvgpr_write_b32 a240, v30
	v_fma_f64 v[30:31], v[10:11], s[18:19], -v[30:31]
	v_add_f64 v[28:29], v[30:31], v[28:29]
	v_mul_f64 v[30:31], v[192:193], s[50:51]
	v_accvgpr_write_b32 a223, v31
	v_accvgpr_write_b32 a222, v30
	v_fma_f64 v[30:31], s[26:27], v[22:23], v[30:31]
	v_mul_f64 v[198:199], v[196:197], s[50:51]
	v_add_f64 v[172:173], v[30:31], v[20:21]
	v_fma_f64 v[20:21], v[184:185], s[26:27], -v[198:199]
	v_mul_f64 v[224:225], v[208:209], s[42:43]
	v_add_f64 v[174:175], v[20:21], v[28:29]
	v_fma_f64 v[20:21], s[18:19], v[228:229], v[224:225]
	v_mul_f64 v[194:195], v[210:211], s[40:41]
	v_add_f64 v[20:21], v[180:181], v[20:21]
	v_fma_f64 v[28:29], s[20:21], v[220:221], v[194:195]
	v_accvgpr_write_b32 a169, v83
	v_add_f64 v[28:29], v[28:29], v[20:21]
	v_mul_f64 v[20:21], v[212:213], s[42:43]
	v_accvgpr_write_b32 a168, v82
	v_accvgpr_write_b32 a173, v65
	v_fma_f64 v[30:31], v[230:231], s[18:19], -v[20:21]
	v_mul_f64 v[82:83], v[214:215], s[40:41]
	v_accvgpr_write_b32 a172, v64
	v_add_f64 v[30:31], v[182:183], v[30:31]
	v_fma_f64 v[64:65], v[222:223], s[20:21], -v[82:83]
	v_accvgpr_write_b32 a90, v92
	v_add_f64 v[30:31], v[64:65], v[30:31]
	v_mul_f64 v[64:65], v[218:219], s[48:49]
	v_accvgpr_write_b32 a91, v93
	v_accvgpr_write_b32 a92, v94
	;; [unrolled: 1-line block ×3, first 2 shown]
	v_fma_f64 v[66:67], s[24:25], v[36:37], v[64:65]
	v_mul_f64 v[92:93], v[216:217], s[48:49]
	v_add_f64 v[28:29], v[66:67], v[28:29]
	v_fma_f64 v[66:67], v[38:39], s[24:25], -v[92:93]
	v_accvgpr_write_b32 a94, v96
	v_accvgpr_write_b32 a149, v81
	v_add_f64 v[30:31], v[66:67], v[30:31]
	v_mul_f64 v[66:67], v[14:15], s[54:55]
	v_accvgpr_write_b32 a95, v97
	v_accvgpr_write_b32 a96, v98
	;; [unrolled: 1-line block ×4, first 2 shown]
	v_fma_f64 v[80:81], s[10:11], v[40:41], v[66:67]
	v_mul_f64 v[96:97], v[226:227], s[54:55]
	v_add_f64 v[28:29], v[80:81], v[28:29]
	v_fma_f64 v[80:81], v[42:43], s[10:11], -v[96:97]
	v_add_f64 v[30:31], v[80:81], v[30:31]
	v_mul_f64 v[80:81], v[188:189], s[34:35]
	v_fma_f64 v[94:95], s[14:15], v[44:45], v[80:81]
	v_add_f64 v[94:95], v[94:95], v[28:29]
	v_mul_f64 v[28:29], v[18:19], s[34:35]
	v_accvgpr_write_b32 a110, v164
	v_fma_f64 v[98:99], v[46:47], s[14:15], -v[28:29]
	v_mul_f64 v[190:191], v[34:35], s[50:51]
	v_accvgpr_write_b32 a111, v165
	v_add_f64 v[30:31], v[98:99], v[30:31]
	v_fma_f64 v[98:99], s[26:27], v[48:49], v[190:191]
	v_mul_f64 v[164:165], v[26:27], s[50:51]
	v_add_f64 v[98:99], v[98:99], v[94:95]
	v_fma_f64 v[94:95], v[50:51], s[26:27], -v[164:165]
	v_accvgpr_write_b32 a112, v166
	v_add_f64 v[30:31], v[94:95], v[30:31]
	v_mul_f64 v[94:95], v[24:25], s[60:61]
	v_accvgpr_write_b32 a113, v167
	v_fma_f64 v[166:167], s[22:23], v[12:13], v[94:95]
	v_add_f64 v[176:177], v[166:167], v[98:99]
	v_mul_f64 v[166:167], v[186:187], s[60:61]
	v_fma_f64 v[98:99], v[10:11], s[22:23], -v[166:167]
	v_add_f64 v[178:179], v[98:99], v[30:31]
	v_mul_f64 v[98:99], v[192:193], s[52:53]
	v_fma_f64 v[30:31], s[16:17], v[22:23], v[98:99]
	v_add_f64 v[176:177], v[30:31], v[176:177]
	v_mul_f64 v[30:31], v[196:197], s[52:53]
	v_fma_f64 v[200:201], v[184:185], s[16:17], -v[30:31]
	v_add_f64 v[178:179], v[200:201], v[178:179]
	s_and_saveexec_b64 s[30:31], s[2:3]
	s_cbranch_execz .LBB0_9
; %bb.8:
	v_mul_f64 v[200:201], v[230:231], s[20:21]
	v_accvgpr_write_b32 a194, v202
	v_accvgpr_write_b32 a196, v204
	;; [unrolled: 1-line block ×3, first 2 shown]
	v_fma_f64 v[202:203], s[58:59], v[212:213], v[200:201]
	v_accvgpr_write_b32 a197, v205
	v_mul_f64 v[204:205], v[222:223], s[10:11]
	v_accvgpr_write_b32 a198, v206
	v_add_f64 v[202:203], v[182:183], v[202:203]
	v_accvgpr_write_b32 a199, v207
	v_fma_f64 v[206:207], s[28:29], v[214:215], v[204:205]
	v_add_f64 v[202:203], v[206:207], v[202:203]
	v_mul_f64 v[206:207], v[38:39], s[26:27]
	v_accvgpr_write_b32 a72, v119
	v_fma_f64 v[118:119], s[46:47], v[216:217], v[206:207]
	v_add_f64 v[118:119], v[118:119], v[202:203]
	v_mul_f64 v[202:203], v[42:43], s[16:17]
	v_accvgpr_write_b32 a56, v120
	v_accvgpr_write_b32 a57, v121
	v_accvgpr_write_b32 a58, v122
	v_accvgpr_write_b32 a59, v123
	v_fma_f64 v[120:121], s[36:37], v[226:227], v[202:203]
	v_add_f64 v[118:119], v[120:121], v[118:119]
	v_mul_f64 v[120:121], v[46:47], s[22:23]
	v_fma_f64 v[122:123], s[60:61], v[18:19], v[120:121]
	v_add_f64 v[118:119], v[122:123], v[118:119]
	v_mul_f64 v[122:123], v[50:51], s[14:15]
	v_accvgpr_write_b32 a60, v124
	v_accvgpr_write_b32 a61, v125
	;; [unrolled: 1-line block ×4, first 2 shown]
	v_fma_f64 v[124:125], s[34:35], v[26:27], v[122:123]
	v_add_f64 v[118:119], v[124:125], v[118:119]
	v_mul_f64 v[124:125], v[10:11], s[24:25]
	v_fma_f64 v[126:127], s[48:49], v[186:187], v[124:125]
	v_add_f64 v[118:119], v[126:127], v[118:119]
	v_mul_f64 v[126:127], v[208:209], s[40:41]
	v_accvgpr_write_b32 a217, v117
	v_accvgpr_write_b32 a64, v128
	v_accvgpr_write_b32 a216, v116
	v_fma_f64 v[116:117], s[20:21], v[228:229], v[126:127]
	v_accvgpr_write_b32 a65, v129
	v_accvgpr_write_b32 a66, v130
	;; [unrolled: 1-line block ×3, first 2 shown]
	v_mul_f64 v[128:129], v[210:211], s[54:55]
	v_add_f64 v[116:117], v[180:181], v[116:117]
	v_fma_f64 v[130:131], s[10:11], v[220:221], v[128:129]
	v_add_f64 v[116:117], v[130:131], v[116:117]
	v_mul_f64 v[130:131], v[218:219], s[50:51]
	v_accvgpr_write_b32 a73, v132
	v_fma_f64 v[132:133], s[26:27], v[36:37], v[130:131]
	v_add_f64 v[116:117], v[132:133], v[116:117]
	v_mul_f64 v[132:133], v[14:15], s[52:53]
	v_accvgpr_write_b32 a68, v134
	v_accvgpr_write_b32 a69, v135
	;; [unrolled: 1-line block ×4, first 2 shown]
	v_fma_f64 v[134:135], s[16:17], v[40:41], v[132:133]
	v_add_f64 v[116:117], v[134:135], v[116:117]
	v_mul_f64 v[134:135], v[188:189], s[38:39]
	v_fma_f64 v[136:137], s[22:23], v[44:45], v[134:135]
	v_add_f64 v[116:117], v[136:137], v[116:117]
	v_mul_f64 v[136:137], v[34:35], s[56:57]
	v_accvgpr_write_b32 a74, v138
	v_accvgpr_write_b32 a75, v139
	;; [unrolled: 1-line block ×4, first 2 shown]
	v_fma_f64 v[138:139], s[14:15], v[48:49], v[136:137]
	v_add_f64 v[116:117], v[138:139], v[116:117]
	v_mul_f64 v[138:139], v[24:25], s[44:45]
	v_fma_f64 v[140:141], s[24:25], v[12:13], v[138:139]
	v_add_f64 v[116:117], v[140:141], v[116:117]
	v_mul_f64 v[140:141], v[184:185], s[18:19]
	v_accvgpr_write_b32 a249, v145
	v_accvgpr_write_b32 a248, v144
	;; [unrolled: 1-line block ×4, first 2 shown]
	v_fma_f64 v[142:143], s[42:43], v[196:197], v[140:141]
	s_mov_b32 s63, 0x3fefdd0d
	s_mov_b32 s62, s42
	v_add_f64 v[144:145], v[142:143], v[118:119]
	v_mul_f64 v[118:119], v[192:193], s[62:63]
	v_fma_f64 v[142:143], s[18:19], v[22:23], v[118:119]
	v_fmac_f64_e32 v[200:201], s[40:41], v[212:213]
	v_add_f64 v[142:143], v[142:143], v[116:117]
	v_fmac_f64_e32 v[204:205], s[54:55], v[214:215]
	v_add_f64 v[116:117], v[182:183], v[200:201]
	v_add_f64 v[116:117], v[204:205], v[116:117]
	v_fmac_f64_e32 v[206:207], s[50:51], v[216:217]
	v_add_f64 v[116:117], v[206:207], v[116:117]
	v_fmac_f64_e32 v[202:203], s[52:53], v[226:227]
	;; [unrolled: 2-line block ×4, first 2 shown]
	v_add_f64 v[116:117], v[122:123], v[116:117]
	v_fma_f64 v[122:123], v[228:229], s[20:21], -v[126:127]
	v_fma_f64 v[120:121], v[220:221], s[10:11], -v[128:129]
	v_add_f64 v[122:123], v[180:181], v[122:123]
	v_add_f64 v[120:121], v[120:121], v[122:123]
	v_fma_f64 v[122:123], v[36:37], s[26:27], -v[130:131]
	v_add_f64 v[120:121], v[122:123], v[120:121]
	v_fma_f64 v[122:123], v[40:41], s[16:17], -v[132:133]
	;; [unrolled: 2-line block ×3, first 2 shown]
	v_fmac_f64_e32 v[124:125], s[44:45], v[186:187]
	v_add_f64 v[120:121], v[122:123], v[120:121]
	v_fma_f64 v[122:123], v[48:49], s[14:15], -v[136:137]
	v_add_f64 v[116:117], v[124:125], v[116:117]
	v_add_f64 v[120:121], v[122:123], v[120:121]
	v_fma_f64 v[122:123], v[12:13], s[24:25], -v[138:139]
	v_fmac_f64_e32 v[140:141], s[62:63], v[196:197]
	v_add_f64 v[120:121], v[122:123], v[120:121]
	v_add_f64 v[122:123], v[140:141], v[116:117]
	v_fma_f64 v[116:117], v[22:23], s[18:19], -v[118:119]
	v_add_f64 v[120:121], v[116:117], v[120:121]
	v_accvgpr_write_b32 a231, v123
	v_mul_f64 v[116:117], v[230:231], s[26:27]
	v_accvgpr_write_b32 a230, v122
	v_accvgpr_write_b32 a229, v121
	;; [unrolled: 1-line block ×3, first 2 shown]
	v_fma_f64 v[118:119], s[46:47], v[212:213], v[116:117]
	v_mul_f64 v[120:121], v[222:223], s[14:15]
	v_add_f64 v[118:119], v[182:183], v[118:119]
	v_fma_f64 v[122:123], s[34:35], v[214:215], v[120:121]
	v_add_f64 v[118:119], v[122:123], v[118:119]
	v_mul_f64 v[122:123], v[38:39], s[18:19]
	v_fma_f64 v[124:125], s[62:63], v[216:217], v[122:123]
	v_add_f64 v[118:119], v[124:125], v[118:119]
	v_mul_f64 v[124:125], v[42:43], s[22:23]
	;; [unrolled: 3-line block ×6, first 2 shown]
	v_fma_f64 v[134:135], s[26:27], v[228:229], v[132:133]
	v_mul_f64 v[136:137], v[210:211], s[56:57]
	v_add_f64 v[134:135], v[180:181], v[134:135]
	v_fma_f64 v[138:139], s[14:15], v[220:221], v[136:137]
	v_add_f64 v[134:135], v[138:139], v[134:135]
	v_mul_f64 v[138:139], v[218:219], s[42:43]
	v_fma_f64 v[140:141], s[18:19], v[36:37], v[138:139]
	v_accvgpr_write_b32 a205, v145
	v_add_f64 v[134:135], v[140:141], v[134:135]
	v_mul_f64 v[140:141], v[14:15], s[60:61]
	v_accvgpr_write_b32 a204, v144
	v_accvgpr_write_b32 a203, v143
	;; [unrolled: 1-line block ×3, first 2 shown]
	v_fma_f64 v[142:143], s[22:23], v[40:41], v[140:141]
	v_add_f64 v[134:135], v[142:143], v[134:135]
	v_mul_f64 v[142:143], v[188:189], s[28:29]
	v_fma_f64 v[200:201], s[10:11], v[44:45], v[142:143]
	v_fmac_f64_e32 v[116:117], s[50:51], v[212:213]
	v_add_f64 v[134:135], v[200:201], v[134:135]
	v_mul_f64 v[200:201], v[34:35], s[40:41]
	v_fmac_f64_e32 v[120:121], s[56:57], v[214:215]
	v_add_f64 v[116:117], v[182:183], v[116:117]
	v_fma_f64 v[202:203], s[20:21], v[48:49], v[200:201]
	v_add_f64 v[116:117], v[120:121], v[116:117]
	v_fmac_f64_e32 v[122:123], s[42:43], v[216:217]
	v_add_f64 v[134:135], v[202:203], v[134:135]
	v_mul_f64 v[202:203], v[24:25], s[52:53]
	v_add_f64 v[116:117], v[122:123], v[116:117]
	v_fma_f64 v[122:123], v[228:229], s[26:27], -v[132:133]
	v_fma_f64 v[204:205], s[16:17], v[12:13], v[202:203]
	v_fma_f64 v[120:121], v[220:221], s[14:15], -v[136:137]
	v_add_f64 v[122:123], v[180:181], v[122:123]
	v_add_f64 v[134:135], v[204:205], v[134:135]
	v_mul_f64 v[204:205], v[184:185], s[24:25]
	v_fmac_f64_e32 v[124:125], s[60:61], v[226:227]
	v_add_f64 v[120:121], v[120:121], v[122:123]
	v_fma_f64 v[122:123], v[36:37], s[18:19], -v[138:139]
	v_accvgpr_write_b32 a233, v55
	v_fma_f64 v[206:207], s[48:49], v[196:197], v[204:205]
	v_add_f64 v[116:117], v[124:125], v[116:117]
	v_fmac_f64_e32 v[126:127], s[28:29], v[18:19]
	v_add_f64 v[120:121], v[122:123], v[120:121]
	v_fma_f64 v[122:123], v[40:41], s[22:23], -v[140:141]
	v_accvgpr_write_b32 a232, v54
	v_add_f64 v[54:55], v[206:207], v[118:119]
	v_mul_f64 v[118:119], v[192:193], s[44:45]
	v_add_f64 v[116:117], v[126:127], v[116:117]
	v_fmac_f64_e32 v[128:129], s[40:41], v[26:27]
	v_add_f64 v[120:121], v[122:123], v[120:121]
	v_fma_f64 v[122:123], v[44:45], s[10:11], -v[142:143]
	v_accvgpr_write_b32 a225, v53
	v_fma_f64 v[206:207], s[24:25], v[22:23], v[118:119]
	v_add_f64 v[116:117], v[128:129], v[116:117]
	v_fmac_f64_e32 v[130:131], s[52:53], v[186:187]
	v_add_f64 v[120:121], v[122:123], v[120:121]
	v_fma_f64 v[122:123], v[48:49], s[20:21], -v[200:201]
	v_accvgpr_write_b32 a224, v52
	v_add_f64 v[52:53], v[206:207], v[134:135]
	v_accvgpr_write_b32 a245, v55
	v_add_f64 v[116:117], v[130:131], v[116:117]
	v_add_f64 v[120:121], v[122:123], v[120:121]
	v_fma_f64 v[122:123], v[12:13], s[16:17], -v[202:203]
	v_fmac_f64_e32 v[204:205], s[44:45], v[196:197]
	v_accvgpr_write_b32 a244, v54
	v_accvgpr_write_b32 a243, v53
	;; [unrolled: 1-line block ×3, first 2 shown]
	v_add_f64 v[120:121], v[122:123], v[120:121]
	v_add_f64 v[54:55], v[204:205], v[116:117]
	v_fma_f64 v[116:117], v[22:23], s[24:25], -v[118:119]
	v_add_f64 v[52:53], v[116:117], v[120:121]
	v_mul_f64 v[116:117], v[230:231], s[22:23]
	v_fma_f64 v[118:119], s[60:61], v[212:213], v[116:117]
	v_mul_f64 v[120:121], v[222:223], s[24:25]
	v_add_f64 v[118:119], v[182:183], v[118:119]
	v_fma_f64 v[122:123], s[44:45], v[214:215], v[120:121]
	v_add_f64 v[118:119], v[122:123], v[118:119]
	v_mul_f64 v[122:123], v[38:39], s[10:11]
	v_fma_f64 v[124:125], s[54:55], v[216:217], v[122:123]
	v_add_f64 v[118:119], v[124:125], v[118:119]
	v_mul_f64 v[124:125], v[42:43], s[26:27]
	v_fma_f64 v[126:127], s[46:47], v[226:227], v[124:125]
	v_add_f64 v[118:119], v[126:127], v[118:119]
	v_mul_f64 v[126:127], v[46:47], s[18:19]
	v_fma_f64 v[128:129], s[42:43], v[18:19], v[126:127]
	v_add_f64 v[118:119], v[128:129], v[118:119]
	v_mul_f64 v[128:129], v[50:51], s[16:17]
	v_fma_f64 v[130:131], s[52:53], v[26:27], v[128:129]
	v_add_f64 v[118:119], v[130:131], v[118:119]
	v_mul_f64 v[130:131], v[10:11], s[20:21]
	v_fma_f64 v[132:133], s[58:59], v[186:187], v[130:131]
	v_add_f64 v[118:119], v[132:133], v[118:119]
	v_mul_f64 v[132:133], v[208:209], s[38:39]
	v_fma_f64 v[134:135], s[22:23], v[228:229], v[132:133]
	v_mul_f64 v[136:137], v[210:211], s[48:49]
	v_fmac_f64_e32 v[116:117], s[38:39], v[212:213]
	v_add_f64 v[134:135], v[180:181], v[134:135]
	v_fma_f64 v[138:139], s[24:25], v[220:221], v[136:137]
	v_fmac_f64_e32 v[120:121], s[48:49], v[214:215]
	v_add_f64 v[116:117], v[182:183], v[116:117]
	v_add_f64 v[134:135], v[138:139], v[134:135]
	v_mul_f64 v[138:139], v[218:219], s[28:29]
	v_add_f64 v[116:117], v[120:121], v[116:117]
	v_fmac_f64_e32 v[122:123], s[28:29], v[216:217]
	v_fma_f64 v[140:141], s[10:11], v[36:37], v[138:139]
	v_add_f64 v[116:117], v[122:123], v[116:117]
	v_fma_f64 v[122:123], v[228:229], s[22:23], -v[132:133]
	v_add_f64 v[134:135], v[140:141], v[134:135]
	v_mul_f64 v[140:141], v[14:15], s[50:51]
	v_fma_f64 v[120:121], v[220:221], s[24:25], -v[136:137]
	v_add_f64 v[122:123], v[180:181], v[122:123]
	v_fma_f64 v[142:143], s[26:27], v[40:41], v[140:141]
	v_fmac_f64_e32 v[124:125], s[50:51], v[226:227]
	v_add_f64 v[120:121], v[120:121], v[122:123]
	v_fma_f64 v[122:123], v[36:37], s[10:11], -v[138:139]
	v_add_f64 v[134:135], v[142:143], v[134:135]
	v_mul_f64 v[142:143], v[188:189], s[62:63]
	v_add_f64 v[116:117], v[124:125], v[116:117]
	v_fmac_f64_e32 v[126:127], s[62:63], v[18:19]
	v_add_f64 v[120:121], v[122:123], v[120:121]
	v_fma_f64 v[122:123], v[40:41], s[26:27], -v[140:141]
	v_accvgpr_write_b32 a253, v55
	v_mul_f64 v[204:205], v[34:35], s[36:37]
	v_mul_f64 v[144:145], v[184:185], s[14:15]
	v_add_f64 v[116:117], v[126:127], v[116:117]
	v_fmac_f64_e32 v[128:129], s[36:37], v[26:27]
	v_add_f64 v[120:121], v[122:123], v[120:121]
	v_fma_f64 v[122:123], v[44:45], s[18:19], -v[142:143]
	v_accvgpr_write_b32 a252, v54
	v_accvgpr_write_b32 a251, v53
	;; [unrolled: 1-line block ×3, first 2 shown]
	v_fma_f64 v[200:201], s[18:19], v[44:45], v[142:143]
	v_mul_f64 v[206:207], v[24:25], s[40:41]
	v_mov_b64_e32 v[54:55], v[146:147]
	v_fma_f64 v[146:147], s[34:35], v[196:197], v[144:145]
	v_add_f64 v[116:117], v[128:129], v[116:117]
	v_fmac_f64_e32 v[130:131], s[40:41], v[186:187]
	v_add_f64 v[120:121], v[122:123], v[120:121]
	v_fma_f64 v[122:123], v[48:49], s[16:17], -v[204:205]
	v_add_f64 v[134:135], v[200:201], v[134:135]
	v_fma_f64 v[200:201], s[16:17], v[48:49], v[204:205]
	v_add_f64 v[202:203], v[146:147], v[118:119]
	v_mul_f64 v[118:119], v[192:193], s[56:57]
	v_add_f64 v[116:117], v[130:131], v[116:117]
	v_add_f64 v[120:121], v[122:123], v[120:121]
	v_fma_f64 v[122:123], v[12:13], s[20:21], -v[206:207]
	v_fmac_f64_e32 v[144:145], s[56:57], v[196:197]
	v_add_f64 v[134:135], v[200:201], v[134:135]
	v_fma_f64 v[200:201], s[20:21], v[12:13], v[206:207]
	v_add_f64 v[120:121], v[122:123], v[120:121]
	v_add_f64 v[206:207], v[144:145], v[116:117]
	v_fma_f64 v[116:117], v[22:23], s[14:15], -v[118:119]
	v_add_f64 v[204:205], v[116:117], v[120:121]
	v_mul_f64 v[116:117], v[230:231], s[24:25]
	v_fma_f64 v[146:147], s[14:15], v[22:23], v[118:119]
	v_fma_f64 v[118:119], s[48:49], v[212:213], v[116:117]
	v_mul_f64 v[120:121], v[222:223], s[26:27]
	v_add_f64 v[118:119], v[182:183], v[118:119]
	v_fma_f64 v[122:123], s[50:51], v[214:215], v[120:121]
	v_add_f64 v[118:119], v[122:123], v[118:119]
	v_mul_f64 v[122:123], v[38:39], s[16:17]
	v_fma_f64 v[124:125], s[36:37], v[216:217], v[122:123]
	v_add_f64 v[118:119], v[124:125], v[118:119]
	v_mul_f64 v[124:125], v[42:43], s[14:15]
	;; [unrolled: 3-line block ×4, first 2 shown]
	v_fma_f64 v[130:131], s[42:43], v[26:27], v[128:129]
	v_add_f64 v[134:135], v[200:201], v[134:135]
	v_add_f64 v[118:119], v[130:131], v[118:119]
	v_mul_f64 v[130:131], v[10:11], s[10:11]
	v_add_f64 v[200:201], v[146:147], v[134:135]
	v_fma_f64 v[132:133], s[54:55], v[186:187], v[130:131]
	v_mul_f64 v[134:135], v[208:209], s[44:45]
	v_add_f64 v[118:119], v[132:133], v[118:119]
	v_mul_f64 v[132:133], v[210:211], s[46:47]
	v_fma_f64 v[136:137], s[24:25], v[228:229], v[134:135]
	v_add_f64 v[136:137], v[180:181], v[136:137]
	v_fma_f64 v[138:139], s[26:27], v[220:221], v[132:133]
	v_add_f64 v[136:137], v[138:139], v[136:137]
	v_mul_f64 v[138:139], v[218:219], s[52:53]
	v_fma_f64 v[140:141], s[16:17], v[36:37], v[138:139]
	v_mul_f64 v[14:15], v[14:15], s[34:35]
	v_add_f64 v[136:137], v[140:141], v[136:137]
	v_fma_f64 v[140:141], s[14:15], v[40:41], v[14:15]
	v_fmac_f64_e32 v[116:117], s[44:45], v[212:213]
	v_add_f64 v[136:137], v[140:141], v[136:137]
	v_mul_f64 v[140:141], v[188:189], s[40:41]
	v_fmac_f64_e32 v[126:127], s[40:41], v[18:19]
	v_fmac_f64_e32 v[120:121], s[46:47], v[214:215]
	v_add_f64 v[18:19], v[182:183], v[116:117]
	v_fma_f64 v[116:117], v[228:229], s[24:25], -v[134:135]
	v_fma_f64 v[142:143], s[20:21], v[44:45], v[140:141]
	v_mul_f64 v[34:35], v[34:35], s[62:63]
	v_fmac_f64_e32 v[128:129], s[62:63], v[26:27]
	v_fmac_f64_e32 v[122:123], s[52:53], v[216:217]
	v_add_f64 v[18:19], v[120:121], v[18:19]
	v_fma_f64 v[26:27], v[220:221], s[26:27], -v[132:133]
	v_add_f64 v[116:117], v[180:181], v[116:117]
	v_add_f64 v[136:137], v[142:143], v[136:137]
	v_fma_f64 v[142:143], s[18:19], v[48:49], v[34:35]
	v_mul_f64 v[24:25], v[24:25], s[28:29]
	v_fmac_f64_e32 v[124:125], s[34:35], v[226:227]
	v_add_f64 v[18:19], v[122:123], v[18:19]
	v_add_f64 v[26:27], v[26:27], v[116:117]
	v_fma_f64 v[116:117], v[36:37], s[16:17], -v[138:139]
	v_add_f64 v[136:137], v[142:143], v[136:137]
	v_fma_f64 v[142:143], s[10:11], v[12:13], v[24:25]
	v_add_f64 v[18:19], v[124:125], v[18:19]
	v_add_f64 v[26:27], v[116:117], v[26:27]
	v_fma_f64 v[14:15], v[40:41], s[14:15], -v[14:15]
	v_add_f64 v[136:137], v[142:143], v[136:137]
	v_mul_f64 v[142:143], v[184:185], s[22:23]
	v_add_f64 v[18:19], v[126:127], v[18:19]
	v_add_f64 v[14:15], v[14:15], v[26:27]
	v_fma_f64 v[26:27], v[44:45], s[20:21], -v[140:141]
	v_fma_f64 v[144:145], s[60:61], v[196:197], v[142:143]
	v_fmac_f64_e32 v[130:131], s[28:29], v[186:187]
	v_add_f64 v[18:19], v[128:129], v[18:19]
	v_add_f64 v[14:15], v[26:27], v[14:15]
	v_fma_f64 v[26:27], v[48:49], s[18:19], -v[34:35]
	v_add_f64 v[210:211], v[144:145], v[118:119]
	v_mul_f64 v[118:119], v[192:193], s[38:39]
	v_fmac_f64_e32 v[142:143], s[38:39], v[196:197]
	v_add_f64 v[18:19], v[130:131], v[18:19]
	v_add_f64 v[14:15], v[26:27], v[14:15]
	v_fma_f64 v[24:25], v[12:13], s[10:11], -v[24:25]
	v_mul_f64 v[34:35], v[222:223], s[20:21]
	v_add_f64 v[14:15], v[24:25], v[14:15]
	v_add_f64 v[214:215], v[142:143], v[18:19]
	v_fma_f64 v[18:19], v[22:23], s[22:23], -v[118:119]
	v_add_f64 v[34:35], v[82:83], v[34:35]
	v_mul_f64 v[82:83], v[230:231], s[18:19]
	v_add_f64 v[212:213], v[18:19], v[14:15]
	v_mul_f64 v[14:15], v[184:185], s[16:17]
	v_add_f64 v[20:21], v[20:21], v[82:83]
	v_add_f64 v[14:15], v[30:31], v[14:15]
	v_mul_f64 v[30:31], v[38:39], s[24:25]
	v_add_f64 v[20:21], v[182:183], v[20:21]
	v_add_f64 v[30:31], v[92:93], v[30:31]
	v_add_f64 v[20:21], v[34:35], v[20:21]
	v_add_f64 v[20:21], v[30:31], v[20:21]
	v_mul_f64 v[30:31], v[40:41], s[10:11]
	v_add_f64 v[30:31], v[30:31], -v[66:67]
	v_mul_f64 v[34:35], v[36:37], s[24:25]
	v_mul_f64 v[66:67], v[228:229], s[18:19]
	;; [unrolled: 1-line block ×3, first 2 shown]
	v_add_f64 v[34:35], v[34:35], -v[64:65]
	v_mul_f64 v[64:65], v[220:221], s[20:21]
	v_add_f64 v[66:67], v[66:67], -v[224:225]
	v_add_f64 v[26:27], v[28:29], v[26:27]
	v_mul_f64 v[28:29], v[42:43], s[10:11]
	v_add_f64 v[64:65], v[64:65], -v[194:195]
	v_add_f64 v[66:67], v[180:181], v[66:67]
	v_add_f64 v[28:29], v[96:97], v[28:29]
	;; [unrolled: 1-line block ×3, first 2 shown]
	v_mul_f64 v[24:25], v[50:51], s[26:27]
	v_add_f64 v[20:21], v[28:29], v[20:21]
	v_mul_f64 v[28:29], v[44:45], s[14:15]
	v_add_f64 v[34:35], v[34:35], v[64:65]
	;; [unrolled: 2-line block ×3, first 2 shown]
	v_add_f64 v[20:21], v[26:27], v[20:21]
	v_mul_f64 v[26:27], v[48:49], s[26:27]
	v_add_f64 v[28:29], v[28:29], -v[80:81]
	v_add_f64 v[30:31], v[30:31], v[34:35]
	v_add_f64 v[18:19], v[166:167], v[18:19]
	v_add_f64 v[20:21], v[24:25], v[20:21]
	v_mul_f64 v[24:25], v[12:13], s[22:23]
	v_add_f64 v[26:27], v[26:27], -v[190:191]
	v_add_f64 v[28:29], v[28:29], v[30:31]
	v_add_f64 v[18:19], v[18:19], v[20:21]
	v_mul_f64 v[20:21], v[22:23], s[16:17]
	v_add_f64 v[24:25], v[24:25], -v[94:95]
	v_add_f64 v[26:27], v[26:27], v[28:29]
	v_add_f64 v[20:21], v[20:21], -v[98:99]
	v_add_f64 v[24:25], v[24:25], v[26:27]
	v_add_f64 v[216:217], v[20:21], v[24:25]
	v_accvgpr_read_b32 v20, a240
	v_add_f64 v[218:219], v[14:15], v[18:19]
	v_mul_f64 v[18:19], v[10:11], s[18:19]
	v_accvgpr_read_b32 v21, a241
	v_accvgpr_read_b32 v24, a238
	v_add_f64 v[18:19], v[20:21], v[18:19]
	v_mul_f64 v[20:21], v[50:51], s[10:11]
	v_accvgpr_read_b32 v25, a239
	;; [unrolled: 4-line block ×7, first 2 shown]
	v_add_f64 v[34:35], v[52:53], v[34:35]
	v_add_f64 v[34:35], v[182:183], v[34:35]
	;; [unrolled: 1-line block ×7, first 2 shown]
	v_accvgpr_read_b32 v52, a222
	v_add_f64 v[18:19], v[18:19], v[20:21]
	v_mul_f64 v[20:21], v[22:23], s[26:27]
	v_accvgpr_read_b32 v53, a223
	v_add_f64 v[80:81], v[20:21], -v[52:53]
	v_accvgpr_read_b32 v52, a220
	v_mul_f64 v[20:21], v[12:13], s[18:19]
	v_accvgpr_read_b32 v53, a221
	v_add_f64 v[20:21], v[20:21], -v[52:53]
	v_accvgpr_read_b32 v52, a212
	;; [unrolled: 4-line block ×6, first 2 shown]
	v_fma_f64 v[144:145], s[22:23], v[22:23], v[118:119]
	v_mul_f64 v[118:119], v[220:221], s[22:23]
	v_accvgpr_read_b32 v53, a201
	v_add_f64 v[118:119], v[118:119], -v[52:53]
	v_accvgpr_read_b32 v52, a192
	v_mul_f64 v[66:67], v[228:229], s[14:15]
	v_accvgpr_read_b32 v53, a193
	v_add_f64 v[66:67], v[66:67], -v[52:53]
	v_add_f64 v[66:67], v[180:181], v[66:67]
	v_add_f64 v[66:67], v[118:119], v[66:67]
	;; [unrolled: 1-line block ×4, first 2 shown]
	v_mul_f64 v[14:15], v[184:185], s[26:27]
	v_add_f64 v[66:67], v[92:93], v[66:67]
	v_add_f64 v[14:15], v[198:199], v[14:15]
	;; [unrolled: 1-line block ×5, first 2 shown]
	v_mul_f64 v[14:15], v[12:13], s[26:27]
	v_mul_f64 v[126:127], v[12:13], s[14:15]
	v_accvgpr_read_b32 v12, a188
	v_add_f64 v[18:19], v[80:81], v[66:67]
	v_mul_f64 v[80:81], v[10:11], s[26:27]
	v_mul_f64 v[10:11], v[10:11], s[14:15]
	v_accvgpr_read_b32 v13, a189
	v_add_f64 v[10:11], v[12:13], v[10:11]
	v_accvgpr_read_b32 v12, a186
	v_mul_f64 v[124:125], v[50:51], s[22:23]
	v_mul_f64 v[50:51], v[50:51], s[24:25]
	v_accvgpr_read_b32 v13, a187
	v_add_f64 v[12:13], v[12:13], v[50:51]
	v_accvgpr_read_b32 v50, a184
	;; [unrolled: 5-line block ×3, first 2 shown]
	v_mul_f64 v[96:97], v[42:43], s[18:19]
	v_mul_f64 v[42:43], v[42:43], s[20:21]
	v_accvgpr_read_b32 v52, a190
	v_accvgpr_read_b32 v51, a181
	v_mul_f64 v[66:67], v[184:185], s[10:11]
	v_accvgpr_read_b32 v53, a191
	v_add_f64 v[42:43], v[50:51], v[42:43]
	v_accvgpr_read_b32 v50, a172
	v_mul_f64 v[122:123], v[38:39], s[14:15]
	v_mul_f64 v[38:39], v[38:39], s[22:23]
	v_add_f64 v[66:67], v[52:53], v[66:67]
	v_accvgpr_read_b32 v51, a173
	v_accvgpr_read_b32 v52, a136
	v_mul_f64 v[64:65], v[230:231], s[16:17]
	v_add_f64 v[38:39], v[50:51], v[38:39]
	v_accvgpr_read_b32 v50, a144
	v_accvgpr_read_b32 v53, a137
	v_mul_f64 v[116:117], v[222:223], s[18:19]
	v_accvgpr_read_b32 v51, a145
	v_add_f64 v[64:65], v[52:53], v[64:65]
	v_add_f64 v[50:51], v[50:51], v[116:117]
	;; [unrolled: 1-line block ×6, first 2 shown]
	v_accvgpr_read_b32 v42, a174
	v_mul_f64 v[94:95], v[44:45], s[24:25]
	v_mul_f64 v[44:45], v[44:45], s[26:27]
	v_accvgpr_read_b32 v43, a175
	v_add_f64 v[42:43], v[44:45], -v[42:43]
	v_accvgpr_read_b32 v44, a170
	v_mul_f64 v[118:119], v[40:41], s[18:19]
	v_mul_f64 v[40:41], v[40:41], s[20:21]
	v_accvgpr_read_b32 v45, a171
	v_add_f64 v[40:41], v[40:41], -v[44:45]
	v_accvgpr_read_b32 v44, a148
	v_mul_f64 v[120:121], v[36:37], s[14:15]
	v_mul_f64 v[36:37], v[36:37], s[22:23]
	v_add_f64 v[38:39], v[46:47], v[38:39]
	v_accvgpr_read_b32 v45, a149
	v_accvgpr_read_b32 v46, a132
	v_mul_f64 v[28:29], v[228:229], s[16:17]
	v_add_f64 v[36:37], v[36:37], -v[44:45]
	v_accvgpr_read_b32 v44, a140
	v_accvgpr_read_b32 v47, a133
	v_mul_f64 v[98:99], v[220:221], s[18:19]
	v_accvgpr_read_b32 v45, a141
	v_add_f64 v[28:29], v[28:29], -v[46:47]
	v_add_f64 v[44:45], v[98:99], -v[44:45]
	v_add_f64 v[28:29], v[180:181], v[28:29]
	v_add_f64 v[28:29], v[44:45], v[28:29]
	v_accvgpr_read_b32 v44, a138
	v_mul_f64 v[24:25], v[222:223], s[16:17]
	v_accvgpr_read_b32 v45, a139
	v_add_f64 v[28:29], v[36:37], v[28:29]
	v_add_f64 v[24:25], v[44:45], v[24:25]
	v_accvgpr_read_b32 v44, a130
	v_mul_f64 v[30:31], v[230:231], s[10:11]
	v_add_f64 v[12:13], v[12:13], v[38:39]
	v_add_f64 v[28:29], v[40:41], v[28:29]
	v_accvgpr_read_b32 v45, a131
	v_add_f64 v[10:11], v[10:11], v[12:13]
	v_add_f64 v[28:29], v[42:43], v[28:29]
	v_accvgpr_read_b32 v42, a146
	;; [unrolled: 3-line block ×3, first 2 shown]
	v_accvgpr_read_b32 v38, a176
	v_accvgpr_read_b32 v40, a152
	;; [unrolled: 1-line block ×3, first 2 shown]
	v_add_f64 v[30:31], v[182:183], v[30:31]
	v_mul_f64 v[82:83], v[48:49], s[22:23]
	v_mul_f64 v[48:49], v[48:49], s[24:25]
	;; [unrolled: 1-line block ×4, first 2 shown]
	v_accvgpr_read_b32 v11, a183
	v_accvgpr_read_b32 v39, a177
	v_accvgpr_read_b32 v41, a153
	v_add_f64 v[42:43], v[42:43], v[122:123]
	v_add_f64 v[24:25], v[24:25], v[30:31]
	v_add_f64 v[10:11], v[22:23], -v[10:11]
	v_accvgpr_read_b32 v22, a178
	v_add_f64 v[38:39], v[48:49], -v[38:39]
	v_add_f64 v[40:41], v[40:41], v[96:97]
	v_add_f64 v[24:25], v[42:43], v[24:25]
	v_accvgpr_read_b32 v23, a179
	v_add_f64 v[28:29], v[38:39], v[28:29]
	v_accvgpr_read_b32 v38, a156
	;; [unrolled: 2-line block ×3, first 2 shown]
	v_mul_f64 v[26:27], v[220:221], s[16:17]
	v_add_f64 v[22:23], v[126:127], -v[22:23]
	v_accvgpr_read_b32 v36, a160
	v_accvgpr_read_b32 v39, a157
	;; [unrolled: 1-line block ×3, first 2 shown]
	v_add_f64 v[22:23], v[22:23], v[28:29]
	v_accvgpr_read_b32 v28, a164
	v_accvgpr_read_b32 v37, a161
	v_add_f64 v[38:39], v[38:39], v[92:93]
	v_add_f64 v[26:27], v[26:27], -v[40:41]
	v_accvgpr_read_b32 v40, a128
	v_mul_f64 v[34:35], v[228:229], s[10:11]
	v_accvgpr_read_b32 v29, a165
	v_add_f64 v[36:37], v[36:37], v[124:125]
	v_add_f64 v[24:25], v[38:39], v[24:25]
	v_accvgpr_read_b32 v41, a129
	v_add_f64 v[28:29], v[28:29], v[80:81]
	v_add_f64 v[24:25], v[36:37], v[24:25]
	v_accvgpr_read_b32 v38, a142
	v_add_f64 v[34:35], v[34:35], -v[40:41]
	v_add_f64 v[24:25], v[28:29], v[24:25]
	v_accvgpr_read_b32 v28, a162
	v_accvgpr_read_b32 v36, a150
	;; [unrolled: 1-line block ×3, first 2 shown]
	v_add_f64 v[34:35], v[180:181], v[34:35]
	v_add_f64 v[10:11], v[10:11], v[22:23]
	v_accvgpr_read_b32 v22, a168
	v_accvgpr_read_b32 v29, a163
	;; [unrolled: 1-line block ×4, first 2 shown]
	v_add_f64 v[38:39], v[120:121], -v[38:39]
	v_add_f64 v[26:27], v[26:27], v[34:35]
	v_mul_f64 v[130:131], v[184:185], s[20:21]
	v_accvgpr_read_b32 v23, a169
	v_add_f64 v[14:15], v[14:15], -v[28:29]
	v_accvgpr_read_b32 v28, a158
	v_accvgpr_read_b32 v31, a155
	v_add_f64 v[36:37], v[118:119], -v[36:37]
	v_add_f64 v[26:27], v[38:39], v[26:27]
	v_add_f64 v[22:23], v[22:23], v[130:131]
	v_accvgpr_read_b32 v29, a159
	v_add_f64 v[30:31], v[94:95], -v[30:31]
	v_add_f64 v[26:27], v[36:37], v[26:27]
	v_add_f64 v[24:25], v[22:23], v[24:25]
	v_accvgpr_read_b32 v22, a166
	v_add_f64 v[28:29], v[82:83], -v[28:29]
	v_add_f64 v[26:27], v[30:31], v[26:27]
	v_accvgpr_read_b32 v23, a167
	v_add_f64 v[26:27], v[28:29], v[26:27]
	v_add_f64 v[22:23], v[128:129], -v[22:23]
	v_add_f64 v[14:15], v[14:15], v[26:27]
	v_add_f64 v[22:23], v[22:23], v[14:15]
	v_add_f64 v[14:15], v[182:183], v[238:239]
	v_add_f64 v[14:15], v[14:15], v[240:241]
	v_add_f64 v[14:15], v[14:15], v[242:243]
	v_add_f64 v[14:15], v[14:15], v[244:245]
	v_add_f64 v[14:15], v[14:15], v[246:247]
	v_add_f64 v[14:15], v[14:15], v[248:249]
	v_add_f64 v[14:15], v[14:15], v[250:251]
	v_add_f64 v[14:15], v[14:15], v[252:253]
	v_add_f64 v[14:15], v[14:15], v[254:255]
	v_add_f64 v[14:15], v[14:15], v[232:233]
	v_add_f64 v[0:1], v[14:15], v[0:1]
	v_add_f64 v[0:1], v[0:1], v[2:3]
	v_add_f64 v[0:1], v[0:1], v[4:5]
	v_add_f64 v[0:1], v[0:1], v[6:7]
	v_add_f64 v[0:1], v[0:1], v[8:9]
	v_add_f64 v[2:3], v[0:1], v[16:17]
	v_accvgpr_read_b32 v0, a232
	v_accvgpr_read_b32 v1, a233
	;; [unrolled: 1-line block ×3, first 2 shown]
	v_add_f64 v[0:1], v[180:181], v[0:1]
	v_accvgpr_read_b32 v5, a217
	v_add_f64 v[0:1], v[0:1], v[4:5]
	v_accvgpr_read_b32 v4, a110
	v_accvgpr_read_b32 v5, a111
	v_add_f64 v[0:1], v[0:1], v[4:5]
	v_accvgpr_read_b32 v4, a112
	;; [unrolled: 3-line block ×8, first 2 shown]
	v_add_f64 v[0:1], v[0:1], v[54:55]
	v_accvgpr_read_b32 v5, a195
	v_add_f64 v[0:1], v[0:1], v[4:5]
	v_accvgpr_read_b32 v4, a196
	v_accvgpr_read_b32 v5, a197
	v_add_f64 v[0:1], v[0:1], v[4:5]
	v_accvgpr_read_b32 v4, a198
	;; [unrolled: 3-line block ×5, first 2 shown]
	v_accvgpr_read_b32 v5, a127
	v_add_f64 v[0:1], v[0:1], v[4:5]
	v_add_f64 v[208:209], v[144:145], v[136:137]
	v_accvgpr_read_b32 v137, a71
	v_accvgpr_read_b32 v141, a77
	;; [unrolled: 1-line block ×7, first 2 shown]
	ds_write_b128 v235, v[0:3]
	v_accvgpr_read_b32 v0, a0
	v_accvgpr_read_b32 v132, a73
	;; [unrolled: 1-line block ×21, first 2 shown]
	v_lshl_add_u32 v0, v0, 4, v118
	ds_write_b128 v0, v[22:25] offset:832
	ds_write_b128 v0, v[10:13] offset:1664
	;; [unrolled: 1-line block ×16, first 2 shown]
.LBB0_9:
	s_or_b64 exec, exec, s[30:31]
	v_lshl_add_u64 v[0:1], s[8:9], 0, v[236:237]
	s_mov_b64 s[8:9], 0x3740
	v_lshl_add_u64 v[14:15], v[0:1], 0, s[8:9]
	s_movk_i32 s8, 0x3000
	v_add_co_u32_e32 v6, vcc, s8, v0
	s_waitcnt lgkmcnt(0)
	s_nop 0
	v_addc_co_u32_e32 v7, vcc, 0, v1, vcc
	s_barrier
	global_load_dwordx4 v[6:9], v[6:7], off offset:1856
	ds_read_b128 v[2:5], v235
	s_movk_i32 s8, 0x4000
	s_mov_b32 s24, 0xe00740e9
	s_mov_b32 s18, 0x1ea71119
	;; [unrolled: 1-line block ×33, first 2 shown]
	ds_read_b128 v[180:183], v235 offset:13056
	s_waitcnt vmcnt(0) lgkmcnt(1)
	v_mul_f64 v[10:11], v[4:5], v[8:9]
	v_mul_f64 v[12:13], v[2:3], v[8:9]
	v_fma_f64 v[10:11], v[2:3], v[6:7], -v[10:11]
	v_fmac_f64_e32 v[12:13], v[4:5], v[6:7]
	global_load_dwordx4 v[6:9], v[14:15], off offset:1088
	ds_read_b128 v[2:5], v235 offset:1088
	ds_write_b128 v235, v[10:13]
	s_waitcnt vmcnt(0) lgkmcnt(1)
	v_mul_f64 v[10:11], v[4:5], v[8:9]
	v_mul_f64 v[12:13], v[2:3], v[8:9]
	v_fma_f64 v[10:11], v[2:3], v[6:7], -v[10:11]
	v_fmac_f64_e32 v[12:13], v[4:5], v[6:7]
	global_load_dwordx4 v[6:9], v[14:15], off offset:2176
	ds_read_b128 v[2:5], v235 offset:2176
	ds_write_b128 v235, v[10:13] offset:1088
	s_waitcnt vmcnt(0) lgkmcnt(1)
	v_mul_f64 v[10:11], v[4:5], v[8:9]
	v_mul_f64 v[12:13], v[2:3], v[8:9]
	v_fma_f64 v[10:11], v[2:3], v[6:7], -v[10:11]
	v_fmac_f64_e32 v[12:13], v[4:5], v[6:7]
	global_load_dwordx4 v[6:9], v[14:15], off offset:3264
	v_accvgpr_read_b32 v2, a0
	v_lshl_add_u32 v232, v2, 4, v118
	ds_read_b128 v[2:5], v232 offset:3264
	v_add_co_u32_e32 v14, vcc, s8, v0
	ds_write_b128 v235, v[10:13] offset:2176
	s_nop 0
	v_addc_co_u32_e32 v15, vcc, 0, v1, vcc
	s_movk_i32 s8, 0x5000
	s_waitcnt vmcnt(0) lgkmcnt(1)
	v_mul_f64 v[10:11], v[4:5], v[8:9]
	v_mul_f64 v[12:13], v[2:3], v[8:9]
	v_fma_f64 v[10:11], v[2:3], v[6:7], -v[10:11]
	v_fmac_f64_e32 v[12:13], v[4:5], v[6:7]
	global_load_dwordx4 v[6:9], v[14:15], off offset:2112
	ds_read_b128 v[2:5], v235 offset:4352
	ds_write_b128 v232, v[10:13] offset:3264
	s_waitcnt vmcnt(0) lgkmcnt(1)
	v_mul_f64 v[10:11], v[4:5], v[8:9]
	v_mul_f64 v[12:13], v[2:3], v[8:9]
	v_fma_f64 v[10:11], v[2:3], v[6:7], -v[10:11]
	v_fmac_f64_e32 v[12:13], v[4:5], v[6:7]
	global_load_dwordx4 v[6:9], v[14:15], off offset:3200
	ds_read_b128 v[2:5], v235 offset:5440
	v_add_co_u32_e32 v14, vcc, s8, v0
	ds_write_b128 v235, v[10:13] offset:4352
	s_nop 0
	v_addc_co_u32_e32 v15, vcc, 0, v1, vcc
	s_movk_i32 s8, 0x6000
	s_waitcnt vmcnt(0) lgkmcnt(1)
	v_mul_f64 v[10:11], v[4:5], v[8:9]
	v_mul_f64 v[12:13], v[2:3], v[8:9]
	v_fma_f64 v[10:11], v[2:3], v[6:7], -v[10:11]
	v_fmac_f64_e32 v[12:13], v[4:5], v[6:7]
	global_load_dwordx4 v[6:9], v[14:15], off offset:192
	ds_read_b128 v[2:5], v235 offset:6528
	ds_write_b128 v235, v[10:13] offset:5440
	s_waitcnt vmcnt(0) lgkmcnt(1)
	v_mul_f64 v[10:11], v[4:5], v[8:9]
	v_mul_f64 v[12:13], v[2:3], v[8:9]
	v_fma_f64 v[10:11], v[2:3], v[6:7], -v[10:11]
	v_fmac_f64_e32 v[12:13], v[4:5], v[6:7]
	global_load_dwordx4 v[6:9], v[14:15], off offset:1280
	ds_read_b128 v[2:5], v235 offset:7616
	ds_write_b128 v235, v[10:13] offset:6528
	;; [unrolled: 8-line block ×4, first 2 shown]
	s_waitcnt vmcnt(0) lgkmcnt(1)
	v_mul_f64 v[10:11], v[4:5], v[8:9]
	v_mul_f64 v[12:13], v[2:3], v[8:9]
	v_fma_f64 v[10:11], v[2:3], v[6:7], -v[10:11]
	v_fmac_f64_e32 v[12:13], v[4:5], v[6:7]
	ds_write_b128 v235, v[10:13] offset:9792
	v_add_co_u32_e32 v12, vcc, s8, v0
	ds_read_b128 v[2:5], v235 offset:10880
	s_nop 0
	v_addc_co_u32_e32 v13, vcc, 0, v1, vcc
	global_load_dwordx4 v[6:9], v[12:13], off offset:448
	s_mov_b32 s8, 0x66966769
	s_mov_b32 s9, 0xbfefc445
	;; [unrolled: 1-line block ×3, first 2 shown]
	s_waitcnt vmcnt(0) lgkmcnt(0)
	v_mul_f64 v[0:1], v[4:5], v[8:9]
	v_fma_f64 v[0:1], v[2:3], v[6:7], -v[0:1]
	v_mul_f64 v[2:3], v[2:3], v[8:9]
	v_fmac_f64_e32 v[2:3], v[4:5], v[6:7]
	global_load_dwordx4 v[4:7], v[12:13], off offset:1536
	ds_write_b128 v235, v[0:3] offset:10880
	ds_read_b128 v[0:3], v235 offset:11968
	s_waitcnt vmcnt(0) lgkmcnt(0)
	v_mul_f64 v[8:9], v[2:3], v[6:7]
	v_mul_f64 v[10:11], v[0:1], v[6:7]
	v_fma_f64 v[8:9], v[0:1], v[4:5], -v[8:9]
	v_fmac_f64_e32 v[10:11], v[2:3], v[4:5]
	global_load_dwordx4 v[0:3], v[12:13], off offset:2624
	ds_write_b128 v235, v[8:11] offset:11968
	s_waitcnt vmcnt(0)
	v_mul_f64 v[4:5], v[182:183], v[2:3]
	v_mul_f64 v[6:7], v[180:181], v[2:3]
	v_fma_f64 v[4:5], v[180:181], v[0:1], -v[4:5]
	v_fmac_f64_e32 v[6:7], v[182:183], v[0:1]
	ds_write_b128 v235, v[4:7] offset:13056
	s_waitcnt lgkmcnt(0)
	s_barrier
	ds_read_b128 v[212:215], v235
	ds_read_b128 v[0:3], v235 offset:1088
	ds_read_b128 v[216:219], v235 offset:2176
	;; [unrolled: 1-line block ×12, first 2 shown]
	s_waitcnt lgkmcnt(11)
	v_add_f64 v[14:15], v[214:215], v[2:3]
	v_add_f64 v[12:13], v[212:213], v[0:1]
	s_waitcnt lgkmcnt(10)
	v_add_f64 v[14:15], v[14:15], v[218:219]
	v_add_f64 v[12:13], v[12:13], v[216:217]
	;; [unrolled: 3-line block ×12, first 2 shown]
	v_add_f64 v[180:181], v[12:13], v[8:9]
	v_add_f64 v[12:13], v[0:1], v[8:9]
	v_add_f64 v[0:1], v[0:1], -v[8:9]
	v_mul_f64 v[16:17], v[14:15], s[24:25]
	v_mul_f64 v[24:25], v[14:15], s[18:19]
	;; [unrolled: 1-line block ×6, first 2 shown]
	v_add_f64 v[2:3], v[2:3], -v[10:11]
	v_fma_f64 v[80:81], s[46:47], v[0:1], v[14:15]
	v_fmac_f64_e32 v[14:15], s[42:43], v[0:1]
	v_mul_f64 v[8:9], v[2:3], s[22:23]
	v_fma_f64 v[18:19], s[26:27], v[0:1], v[16:17]
	v_fmac_f64_e32 v[16:17], s[22:23], v[0:1]
	v_mul_f64 v[20:21], v[2:3], s[16:17]
	;; [unrolled: 3-line block ×6, first 2 shown]
	v_add_f64 v[0:1], v[214:215], v[14:15]
	v_add_f64 v[14:15], v[218:219], v[6:7]
	v_add_f64 v[6:7], v[218:219], -v[6:7]
	v_fma_f64 v[10:11], s[24:25], v[12:13], v[8:9]
	v_fma_f64 v[8:9], v[12:13], s[24:25], -v[8:9]
	v_fma_f64 v[22:23], s[18:19], v[12:13], v[20:21]
	v_fma_f64 v[20:21], v[12:13], s[18:19], -v[20:21]
	;; [unrolled: 2-line block ×6, first 2 shown]
	v_add_f64 v[12:13], v[216:217], v[4:5]
	v_mul_f64 v[82:83], v[6:7], s[16:17]
	v_add_f64 v[10:11], v[212:213], v[10:11]
	v_fma_f64 v[92:93], s[18:19], v[12:13], v[82:83]
	v_add_f64 v[8:9], v[212:213], v[8:9]
	v_add_f64 v[4:5], v[216:217], -v[4:5]
	v_add_f64 v[10:11], v[92:93], v[10:11]
	v_mul_f64 v[92:93], v[14:15], s[18:19]
	v_fma_f64 v[82:83], v[12:13], s[18:19], -v[82:83]
	v_add_f64 v[16:17], v[214:215], v[16:17]
	v_fma_f64 v[94:95], s[20:21], v[4:5], v[92:93]
	v_add_f64 v[8:9], v[82:83], v[8:9]
	v_fmac_f64_e32 v[92:93], s[16:17], v[4:5]
	v_mul_f64 v[82:83], v[6:7], s[28:29]
	v_add_f64 v[22:23], v[212:213], v[22:23]
	v_add_f64 v[16:17], v[92:93], v[16:17]
	v_fma_f64 v[92:93], s[30:31], v[12:13], v[82:83]
	v_add_f64 v[18:19], v[214:215], v[18:19]
	v_add_f64 v[20:21], v[212:213], v[20:21]
	v_add_f64 v[22:23], v[92:93], v[22:23]
	v_mul_f64 v[92:93], v[14:15], s[30:31]
	v_fma_f64 v[82:83], v[12:13], s[30:31], -v[82:83]
	v_add_f64 v[24:25], v[214:215], v[24:25]
	v_add_f64 v[18:19], v[94:95], v[18:19]
	v_fma_f64 v[94:95], s[34:35], v[4:5], v[92:93]
	v_add_f64 v[20:21], v[82:83], v[20:21]
	v_fmac_f64_e32 v[92:93], s[28:29], v[4:5]
	v_mul_f64 v[82:83], v[6:7], s[42:43]
	v_add_f64 v[30:31], v[212:213], v[30:31]
	v_add_f64 v[24:25], v[92:93], v[24:25]
	v_fma_f64 v[92:93], s[44:45], v[12:13], v[82:83]
	v_add_f64 v[26:27], v[214:215], v[26:27]
	v_add_f64 v[28:29], v[212:213], v[28:29]
	v_add_f64 v[30:31], v[92:93], v[30:31]
	v_mul_f64 v[92:93], v[14:15], s[44:45]
	v_fma_f64 v[82:83], v[12:13], s[44:45], -v[82:83]
	v_add_f64 v[34:35], v[214:215], v[34:35]
	;; [unrolled: 14-line block ×3, first 2 shown]
	v_add_f64 v[36:37], v[94:95], v[36:37]
	v_fma_f64 v[94:95], s[36:37], v[4:5], v[92:93]
	v_add_f64 v[38:39], v[82:83], v[38:39]
	v_fmac_f64_e32 v[92:93], s[40:41], v[4:5]
	v_mul_f64 v[82:83], v[6:7], s[14:15]
	v_add_f64 v[48:49], v[212:213], v[48:49]
	v_add_f64 v[46:47], v[212:213], v[46:47]
	;; [unrolled: 1-line block ×3, first 2 shown]
	v_fma_f64 v[92:93], s[10:11], v[12:13], v[82:83]
	v_fma_f64 v[82:83], v[12:13], s[10:11], -v[82:83]
	v_mul_f64 v[6:7], v[6:7], s[26:27]
	v_add_f64 v[66:67], v[212:213], v[66:67]
	v_add_f64 v[48:49], v[92:93], v[48:49]
	v_mul_f64 v[92:93], v[14:15], s[10:11]
	v_add_f64 v[46:47], v[82:83], v[46:47]
	v_fma_f64 v[82:83], s[24:25], v[12:13], v[6:7]
	v_mul_f64 v[14:15], v[14:15], s[24:25]
	v_add_f64 v[66:67], v[82:83], v[66:67]
	v_fma_f64 v[82:83], s[22:23], v[4:5], v[14:15]
	v_fmac_f64_e32 v[14:15], s[26:27], v[4:5]
	v_add_f64 v[44:45], v[214:215], v[44:45]
	v_add_f64 v[80:81], v[214:215], v[80:81]
	;; [unrolled: 1-line block ×3, first 2 shown]
	v_add_f64 v[14:15], v[210:211], -v[222:223]
	v_add_f64 v[50:51], v[214:215], v[50:51]
	v_add_f64 v[2:3], v[212:213], v[2:3]
	;; [unrolled: 1-line block ×3, first 2 shown]
	v_fma_f64 v[94:95], s[8:9], v[4:5], v[92:93]
	v_fmac_f64_e32 v[92:93], s[14:15], v[4:5]
	v_add_f64 v[80:81], v[82:83], v[80:81]
	v_fma_f64 v[6:7], v[12:13], s[24:25], -v[6:7]
	v_add_f64 v[4:5], v[208:209], v[220:221]
	v_mul_f64 v[82:83], v[14:15], s[8:9]
	v_add_f64 v[50:51], v[92:93], v[50:51]
	v_add_f64 v[2:3], v[6:7], v[2:3]
	;; [unrolled: 1-line block ×3, first 2 shown]
	v_fma_f64 v[92:93], s[10:11], v[4:5], v[82:83]
	v_add_f64 v[64:65], v[214:215], v[64:65]
	v_add_f64 v[12:13], v[208:209], -v[220:221]
	v_add_f64 v[10:11], v[92:93], v[10:11]
	v_mul_f64 v[92:93], v[6:7], s[10:11]
	v_fma_f64 v[82:83], v[4:5], s[10:11], -v[82:83]
	v_add_f64 v[64:65], v[94:95], v[64:65]
	v_fma_f64 v[94:95], s[14:15], v[12:13], v[92:93]
	v_add_f64 v[8:9], v[82:83], v[8:9]
	v_fmac_f64_e32 v[92:93], s[8:9], v[12:13]
	v_mul_f64 v[82:83], v[14:15], s[42:43]
	v_add_f64 v[16:17], v[92:93], v[16:17]
	v_fma_f64 v[92:93], s[44:45], v[4:5], v[82:83]
	v_add_f64 v[22:23], v[92:93], v[22:23]
	v_mul_f64 v[92:93], v[6:7], s[44:45]
	v_fma_f64 v[82:83], v[4:5], s[44:45], -v[82:83]
	v_add_f64 v[18:19], v[94:95], v[18:19]
	v_fma_f64 v[94:95], s[46:47], v[12:13], v[92:93]
	v_add_f64 v[20:21], v[82:83], v[20:21]
	v_fmac_f64_e32 v[92:93], s[42:43], v[12:13]
	v_mul_f64 v[82:83], v[14:15], s[34:35]
	v_add_f64 v[24:25], v[92:93], v[24:25]
	v_fma_f64 v[92:93], s[30:31], v[4:5], v[82:83]
	v_add_f64 v[30:31], v[92:93], v[30:31]
	v_mul_f64 v[92:93], v[6:7], s[30:31]
	v_fma_f64 v[82:83], v[4:5], s[30:31], -v[82:83]
	v_add_f64 v[26:27], v[94:95], v[26:27]
	v_fma_f64 v[94:95], s[28:29], v[12:13], v[92:93]
	v_add_f64 v[28:29], v[82:83], v[28:29]
	v_fmac_f64_e32 v[92:93], s[34:35], v[12:13]
	v_mul_f64 v[82:83], v[14:15], s[26:27]
	v_add_f64 v[34:35], v[92:93], v[34:35]
	v_fma_f64 v[92:93], s[24:25], v[4:5], v[82:83]
	v_add_f64 v[40:41], v[92:93], v[40:41]
	v_mul_f64 v[92:93], v[6:7], s[24:25]
	v_fma_f64 v[82:83], v[4:5], s[24:25], -v[82:83]
	v_add_f64 v[36:37], v[94:95], v[36:37]
	v_fma_f64 v[94:95], s[22:23], v[12:13], v[92:93]
	v_add_f64 v[38:39], v[82:83], v[38:39]
	v_fmac_f64_e32 v[92:93], s[26:27], v[12:13]
	v_mul_f64 v[82:83], v[14:15], s[16:17]
	v_add_f64 v[42:43], v[92:93], v[42:43]
	v_fma_f64 v[92:93], s[18:19], v[4:5], v[82:83]
	v_fma_f64 v[82:83], v[4:5], s[18:19], -v[82:83]
	v_mul_f64 v[14:15], v[14:15], s[36:37]
	v_add_f64 v[48:49], v[92:93], v[48:49]
	v_mul_f64 v[92:93], v[6:7], s[18:19]
	v_add_f64 v[46:47], v[82:83], v[46:47]
	v_fma_f64 v[82:83], s[38:39], v[4:5], v[14:15]
	v_mul_f64 v[6:7], v[6:7], s[38:39]
	v_add_f64 v[66:67], v[82:83], v[66:67]
	v_fma_f64 v[82:83], s[40:41], v[12:13], v[6:7]
	v_fma_f64 v[4:5], v[4:5], s[38:39], -v[14:15]
	v_add_f64 v[14:15], v[202:203], -v[206:207]
	v_add_f64 v[44:45], v[94:95], v[44:45]
	v_fma_f64 v[94:95], s[20:21], v[12:13], v[92:93]
	v_fmac_f64_e32 v[92:93], s[16:17], v[12:13]
	v_add_f64 v[80:81], v[82:83], v[80:81]
	v_add_f64 v[2:3], v[4:5], v[2:3]
	v_fmac_f64_e32 v[6:7], s[36:37], v[12:13]
	v_add_f64 v[4:5], v[200:201], v[204:205]
	v_mul_f64 v[82:83], v[14:15], s[28:29]
	v_add_f64 v[50:51], v[92:93], v[50:51]
	v_add_f64 v[0:1], v[6:7], v[0:1]
	;; [unrolled: 1-line block ×3, first 2 shown]
	v_fma_f64 v[92:93], s[30:31], v[4:5], v[82:83]
	v_add_f64 v[12:13], v[200:201], -v[204:205]
	v_add_f64 v[10:11], v[92:93], v[10:11]
	v_mul_f64 v[92:93], v[6:7], s[30:31]
	v_fma_f64 v[82:83], v[4:5], s[30:31], -v[82:83]
	v_add_f64 v[64:65], v[94:95], v[64:65]
	v_fma_f64 v[94:95], s[34:35], v[12:13], v[92:93]
	v_add_f64 v[8:9], v[82:83], v[8:9]
	v_fmac_f64_e32 v[92:93], s[28:29], v[12:13]
	v_mul_f64 v[82:83], v[14:15], s[40:41]
	v_add_f64 v[16:17], v[92:93], v[16:17]
	v_fma_f64 v[92:93], s[38:39], v[4:5], v[82:83]
	v_add_f64 v[22:23], v[92:93], v[22:23]
	v_mul_f64 v[92:93], v[6:7], s[38:39]
	v_fma_f64 v[82:83], v[4:5], s[38:39], -v[82:83]
	v_add_f64 v[18:19], v[94:95], v[18:19]
	v_fma_f64 v[94:95], s[36:37], v[12:13], v[92:93]
	v_add_f64 v[20:21], v[82:83], v[20:21]
	v_fmac_f64_e32 v[92:93], s[40:41], v[12:13]
	v_mul_f64 v[82:83], v[14:15], s[26:27]
	v_add_f64 v[24:25], v[92:93], v[24:25]
	v_fma_f64 v[92:93], s[24:25], v[4:5], v[82:83]
	v_add_f64 v[30:31], v[92:93], v[30:31]
	v_mul_f64 v[92:93], v[6:7], s[24:25]
	v_fma_f64 v[82:83], v[4:5], s[24:25], -v[82:83]
	v_add_f64 v[26:27], v[94:95], v[26:27]
	v_fma_f64 v[94:95], s[22:23], v[12:13], v[92:93]
	v_add_f64 v[28:29], v[82:83], v[28:29]
	v_fmac_f64_e32 v[92:93], s[26:27], v[12:13]
	v_mul_f64 v[82:83], v[14:15], s[8:9]
	v_add_f64 v[34:35], v[92:93], v[34:35]
	v_fma_f64 v[92:93], s[10:11], v[4:5], v[82:83]
	v_add_f64 v[40:41], v[92:93], v[40:41]
	v_mul_f64 v[92:93], v[6:7], s[10:11]
	v_fma_f64 v[82:83], v[4:5], s[10:11], -v[82:83]
	v_add_f64 v[36:37], v[94:95], v[36:37]
	v_fma_f64 v[94:95], s[14:15], v[12:13], v[92:93]
	v_add_f64 v[38:39], v[82:83], v[38:39]
	v_fmac_f64_e32 v[92:93], s[8:9], v[12:13]
	v_mul_f64 v[82:83], v[14:15], s[46:47]
	v_add_f64 v[42:43], v[92:93], v[42:43]
	v_fma_f64 v[92:93], s[44:45], v[4:5], v[82:83]
	v_fma_f64 v[82:83], v[4:5], s[44:45], -v[82:83]
	v_mul_f64 v[14:15], v[14:15], s[20:21]
	v_add_f64 v[48:49], v[92:93], v[48:49]
	v_mul_f64 v[92:93], v[6:7], s[44:45]
	v_add_f64 v[46:47], v[82:83], v[46:47]
	v_fma_f64 v[82:83], s[18:19], v[4:5], v[14:15]
	v_mul_f64 v[6:7], v[6:7], s[18:19]
	v_add_f64 v[66:67], v[82:83], v[66:67]
	v_fma_f64 v[82:83], s[16:17], v[12:13], v[6:7]
	v_fma_f64 v[4:5], v[4:5], s[18:19], -v[14:15]
	v_add_f64 v[14:15], v[194:195], -v[198:199]
	v_add_f64 v[44:45], v[94:95], v[44:45]
	v_fma_f64 v[94:95], s[42:43], v[12:13], v[92:93]
	v_fmac_f64_e32 v[92:93], s[46:47], v[12:13]
	v_add_f64 v[80:81], v[82:83], v[80:81]
	v_add_f64 v[2:3], v[4:5], v[2:3]
	v_fmac_f64_e32 v[6:7], s[20:21], v[12:13]
	v_add_f64 v[4:5], v[192:193], v[196:197]
	v_mul_f64 v[82:83], v[14:15], s[36:37]
	v_add_f64 v[50:51], v[92:93], v[50:51]
	v_add_f64 v[0:1], v[6:7], v[0:1]
	;; [unrolled: 1-line block ×3, first 2 shown]
	v_fma_f64 v[92:93], s[38:39], v[4:5], v[82:83]
	v_add_f64 v[12:13], v[192:193], -v[196:197]
	v_add_f64 v[10:11], v[92:93], v[10:11]
	v_mul_f64 v[92:93], v[6:7], s[38:39]
	v_fma_f64 v[82:83], v[4:5], s[38:39], -v[82:83]
	v_add_f64 v[64:65], v[94:95], v[64:65]
	v_fma_f64 v[94:95], s[40:41], v[12:13], v[92:93]
	v_add_f64 v[8:9], v[82:83], v[8:9]
	v_fmac_f64_e32 v[92:93], s[36:37], v[12:13]
	v_mul_f64 v[82:83], v[14:15], s[14:15]
	v_add_f64 v[16:17], v[92:93], v[16:17]
	v_fma_f64 v[92:93], s[10:11], v[4:5], v[82:83]
	v_add_f64 v[22:23], v[92:93], v[22:23]
	v_mul_f64 v[92:93], v[6:7], s[10:11]
	v_fma_f64 v[82:83], v[4:5], s[10:11], -v[82:83]
	v_add_f64 v[18:19], v[94:95], v[18:19]
	v_fma_f64 v[94:95], s[8:9], v[12:13], v[92:93]
	v_add_f64 v[20:21], v[82:83], v[20:21]
	v_fmac_f64_e32 v[92:93], s[14:15], v[12:13]
	v_mul_f64 v[82:83], v[14:15], s[16:17]
	v_add_f64 v[24:25], v[92:93], v[24:25]
	v_fma_f64 v[92:93], s[18:19], v[4:5], v[82:83]
	;; [unrolled: 10-line block ×4, first 2 shown]
	v_fma_f64 v[82:83], v[4:5], s[24:25], -v[82:83]
	v_mul_f64 v[14:15], v[14:15], s[28:29]
	v_add_f64 v[48:49], v[92:93], v[48:49]
	v_mul_f64 v[92:93], v[6:7], s[24:25]
	v_add_f64 v[46:47], v[82:83], v[46:47]
	v_fma_f64 v[82:83], s[30:31], v[4:5], v[14:15]
	v_mul_f64 v[6:7], v[6:7], s[30:31]
	v_add_f64 v[44:45], v[94:95], v[44:45]
	v_fma_f64 v[94:95], s[22:23], v[12:13], v[92:93]
	v_add_f64 v[66:67], v[82:83], v[66:67]
	v_fma_f64 v[82:83], s[34:35], v[12:13], v[6:7]
	v_fma_f64 v[4:5], v[4:5], s[30:31], -v[14:15]
	v_add_f64 v[116:117], v[186:187], -v[190:191]
	v_add_f64 v[64:65], v[94:95], v[64:65]
	v_fmac_f64_e32 v[92:93], s[26:27], v[12:13]
	v_add_f64 v[80:81], v[82:83], v[80:81]
	v_add_f64 v[82:83], v[4:5], v[2:3]
	v_fmac_f64_e32 v[6:7], s[28:29], v[12:13]
	v_add_f64 v[94:95], v[184:185], v[188:189]
	v_add_f64 v[96:97], v[186:187], v[190:191]
	v_mul_f64 v[4:5], v[116:117], s[42:43]
	v_add_f64 v[50:51], v[92:93], v[50:51]
	v_add_f64 v[92:93], v[6:7], v[0:1]
	v_add_f64 v[98:99], v[184:185], -v[188:189]
	v_fma_f64 v[0:1], s[44:45], v[94:95], v[4:5]
	v_mul_f64 v[6:7], v[96:97], s[44:45]
	v_add_f64 v[0:1], v[0:1], v[10:11]
	v_fma_f64 v[2:3], s[46:47], v[98:99], v[6:7]
	v_fma_f64 v[4:5], v[94:95], s[44:45], -v[4:5]
	v_fmac_f64_e32 v[6:7], s[42:43], v[98:99]
	v_mul_f64 v[10:11], v[96:97], s[24:25]
	v_add_f64 v[184:185], v[4:5], v[8:9]
	v_add_f64 v[186:187], v[6:7], v[16:17]
	v_mul_f64 v[8:9], v[116:117], s[26:27]
	v_fma_f64 v[6:7], s[22:23], v[98:99], v[10:11]
	v_add_f64 v[2:3], v[2:3], v[18:19]
	v_fma_f64 v[4:5], s[24:25], v[94:95], v[8:9]
	v_add_f64 v[6:7], v[6:7], v[26:27]
	v_fmac_f64_e32 v[10:11], s[26:27], v[98:99]
	v_mul_f64 v[18:19], v[96:97], s[38:39]
	v_mul_f64 v[26:27], v[96:97], s[18:19]
	v_add_f64 v[4:5], v[4:5], v[22:23]
	v_fma_f64 v[8:9], v[94:95], s[24:25], -v[8:9]
	v_add_f64 v[10:11], v[10:11], v[24:25]
	v_mul_f64 v[16:17], v[116:117], s[36:37]
	v_fma_f64 v[14:15], s[40:41], v[98:99], v[18:19]
	v_fmac_f64_e32 v[18:19], s[36:37], v[98:99]
	v_mul_f64 v[24:25], v[116:117], s[20:21]
	v_fma_f64 v[22:23], s[16:17], v[98:99], v[26:27]
	v_fmac_f64_e32 v[26:27], s[20:21], v[98:99]
	v_add_f64 v[8:9], v[8:9], v[20:21]
	v_fma_f64 v[12:13], s[38:39], v[94:95], v[16:17]
	v_add_f64 v[14:15], v[14:15], v[36:37]
	v_fma_f64 v[16:17], v[94:95], s[38:39], -v[16:17]
	v_add_f64 v[18:19], v[18:19], v[34:35]
	v_fma_f64 v[20:21], s[18:19], v[94:95], v[24:25]
	v_add_f64 v[22:23], v[22:23], v[44:45]
	v_fma_f64 v[24:25], v[94:95], s[18:19], -v[24:25]
	v_add_f64 v[26:27], v[26:27], v[42:43]
	v_mul_f64 v[34:35], v[116:117], s[28:29]
	v_mul_f64 v[36:37], v[96:97], s[30:31]
	;; [unrolled: 1-line block ×4, first 2 shown]
	v_add_f64 v[12:13], v[12:13], v[30:31]
	v_add_f64 v[16:17], v[16:17], v[28:29]
	v_add_f64 v[20:21], v[20:21], v[40:41]
	v_add_f64 v[24:25], v[24:25], v[38:39]
	v_fma_f64 v[28:29], s[30:31], v[94:95], v[34:35]
	v_fma_f64 v[30:31], s[34:35], v[98:99], v[36:37]
	v_fma_f64 v[34:35], v[94:95], s[30:31], -v[34:35]
	v_fmac_f64_e32 v[36:37], s[28:29], v[98:99]
	v_fma_f64 v[38:39], s[10:11], v[94:95], v[42:43]
	v_fma_f64 v[40:41], s[8:9], v[98:99], v[44:45]
	v_fma_f64 v[42:43], v[94:95], s[10:11], -v[42:43]
	v_fmac_f64_e32 v[44:45], s[14:15], v[98:99]
	v_add_f64 v[28:29], v[28:29], v[48:49]
	v_add_f64 v[30:31], v[30:31], v[64:65]
	;; [unrolled: 1-line block ×8, first 2 shown]
	s_barrier
	ds_write_b128 v32, v[180:183]
	ds_write_b128 v32, v[0:3] offset:16
	ds_write_b128 v32, v[4:7] offset:32
	;; [unrolled: 1-line block ×12, first 2 shown]
	s_waitcnt lgkmcnt(0)
	s_barrier
	ds_read_b128 v[192:195], v235
	ds_read_b128 v[228:231], v235 offset:3536
	ds_read_b128 v[224:227], v235 offset:7072
	;; [unrolled: 1-line block ×11, first 2 shown]
	s_and_saveexec_b64 s[8:9], s[0:1]
	s_cbranch_execz .LBB0_11
; %bb.10:
	ds_read_b128 v[176:179], v235 offset:6800
	ds_read_b128 v[172:175], v235 offset:10336
	;; [unrolled: 1-line block ×4, first 2 shown]
.LBB0_11:
	s_or_b64 exec, exec, s[8:9]
	v_accvgpr_read_b32 v8, a106
	v_accvgpr_read_b32 v10, a108
	;; [unrolled: 1-line block ×4, first 2 shown]
	s_waitcnt lgkmcnt(9)
	v_mul_f64 v[4:5], v[10:11], v[226:227]
	v_mul_f64 v[6:7], v[10:11], v[224:225]
	;; [unrolled: 1-line block ×4, first 2 shown]
	v_fmac_f64_e32 v[4:5], v[8:9], v[224:225]
	v_fma_f64 v[6:7], v[8:9], v[226:227], -v[6:7]
	s_waitcnt lgkmcnt(8)
	v_mul_f64 v[8:9], v[74:75], v[206:207]
	v_mul_f64 v[10:11], v[74:75], v[204:205]
	v_fmac_f64_e32 v[0:1], v[56:57], v[228:229]
	v_fma_f64 v[2:3], v[56:57], v[230:231], -v[2:3]
	v_fmac_f64_e32 v[8:9], v[72:73], v[204:205]
	v_fma_f64 v[10:11], v[72:73], v[206:207], -v[10:11]
	s_waitcnt lgkmcnt(6)
	v_mul_f64 v[12:13], v[78:79], v[218:219]
	v_mul_f64 v[14:15], v[78:79], v[216:217]
	s_waitcnt lgkmcnt(5)
	v_mul_f64 v[16:17], v[70:71], v[222:223]
	v_mul_f64 v[18:19], v[70:71], v[220:221]
	;; [unrolled: 3-line block ×3, first 2 shown]
	v_add_f64 v[4:5], v[192:193], -v[4:5]
	v_add_f64 v[6:7], v[194:195], -v[6:7]
	v_add_f64 v[8:9], v[0:1], -v[8:9]
	v_add_f64 v[10:11], v[2:3], -v[10:11]
	v_fmac_f64_e32 v[12:13], v[76:77], v[216:217]
	v_fma_f64 v[14:15], v[76:77], v[218:219], -v[14:15]
	v_fmac_f64_e32 v[16:17], v[68:69], v[220:221]
	v_fma_f64 v[18:19], v[68:69], v[222:223], -v[18:19]
	;; [unrolled: 2-line block ×3, first 2 shown]
	v_fma_f64 v[50:51], v[192:193], 2.0, -v[4:5]
	v_fma_f64 v[54:55], v[194:195], 2.0, -v[6:7]
	;; [unrolled: 1-line block ×4, first 2 shown]
	s_waitcnt lgkmcnt(2)
	v_mul_f64 v[24:25], v[90:91], v[214:215]
	v_mul_f64 v[26:27], v[90:91], v[212:213]
	s_waitcnt lgkmcnt(1)
	v_mul_f64 v[28:29], v[86:87], v[210:211]
	v_mul_f64 v[30:31], v[86:87], v[208:209]
	;; [unrolled: 3-line block ×3, first 2 shown]
	v_add_f64 v[60:61], v[50:51], -v[0:1]
	v_add_f64 v[62:63], v[54:55], -v[2:3]
	v_add_f64 v[68:69], v[4:5], v[10:11]
	v_add_f64 v[70:71], v[6:7], -v[8:9]
	v_add_f64 v[0:1], v[188:189], -v[16:17]
	;; [unrolled: 1-line block ×5, first 2 shown]
	v_fmac_f64_e32 v[24:25], v[88:89], v[212:213]
	v_fma_f64 v[26:27], v[88:89], v[214:215], -v[26:27]
	v_fmac_f64_e32 v[28:29], v[84:85], v[208:209]
	v_fma_f64 v[30:31], v[84:85], v[210:211], -v[30:31]
	;; [unrolled: 2-line block ×3, first 2 shown]
	v_fma_f64 v[56:57], v[4:5], 2.0, -v[68:69]
	v_fma_f64 v[58:59], v[6:7], 2.0, -v[70:71]
	;; [unrolled: 1-line block ×6, first 2 shown]
	v_add_f64 v[88:89], v[0:1], v[10:11]
	v_add_f64 v[90:91], v[2:3], -v[8:9]
	v_mul_f64 v[38:39], v[114:115], v[178:179]
	v_mul_f64 v[40:41], v[114:115], v[176:177]
	;; [unrolled: 1-line block ×6, first 2 shown]
	v_add_f64 v[84:85], v[4:5], -v[12:13]
	v_add_f64 v[86:87], v[6:7], -v[14:15]
	v_fma_f64 v[76:77], v[0:1], 2.0, -v[88:89]
	v_fma_f64 v[78:79], v[2:3], 2.0, -v[90:91]
	v_add_f64 v[0:1], v[180:181], -v[28:29]
	v_add_f64 v[2:3], v[182:183], -v[30:31]
	;; [unrolled: 1-line block ×4, first 2 shown]
	v_fmac_f64_e32 v[38:39], v[112:113], v[176:177]
	v_fma_f64 v[40:41], v[112:113], v[178:179], -v[40:41]
	v_fmac_f64_e32 v[42:43], v[108:109], v[172:173]
	v_fma_f64 v[44:45], v[108:109], v[174:175], -v[44:45]
	;; [unrolled: 2-line block ×3, first 2 shown]
	v_fma_f64 v[72:73], v[4:5], 2.0, -v[84:85]
	v_fma_f64 v[74:75], v[6:7], 2.0, -v[86:87]
	;; [unrolled: 1-line block ×6, first 2 shown]
	v_add_f64 v[112:113], v[0:1], v[10:11]
	v_add_f64 v[114:115], v[2:3], -v[8:9]
	v_add_f64 v[168:169], v[4:5], -v[12:13]
	;; [unrolled: 1-line block ×3, first 2 shown]
	v_fma_f64 v[180:181], v[0:1], 2.0, -v[112:113]
	v_fma_f64 v[182:183], v[2:3], 2.0, -v[114:115]
	v_add_f64 v[0:1], v[184:185], -v[42:43]
	v_add_f64 v[2:3], v[186:187], -v[44:45]
	;; [unrolled: 1-line block ×4, first 2 shown]
	v_fma_f64 v[176:177], v[4:5], 2.0, -v[168:169]
	v_fma_f64 v[178:179], v[6:7], 2.0, -v[170:171]
	;; [unrolled: 1-line block ×6, first 2 shown]
	v_add_f64 v[104:105], v[4:5], -v[12:13]
	v_add_f64 v[106:107], v[6:7], -v[14:15]
	v_add_f64 v[100:101], v[0:1], v[10:11]
	v_add_f64 v[102:103], v[2:3], -v[8:9]
	v_fma_f64 v[52:53], v[50:51], 2.0, -v[60:61]
	v_fma_f64 v[54:55], v[54:55], 2.0, -v[62:63]
	;; [unrolled: 1-line block ×6, first 2 shown]
	s_barrier
	ds_write_b128 v119, v[52:55]
	ds_write_b128 v119, v[56:59] offset:208
	ds_write_b128 v119, v[60:63] offset:416
	ds_write_b128 v119, v[68:71] offset:624
	ds_write_b128 v33, v[72:75]
	ds_write_b128 v33, v[76:79] offset:208
	ds_write_b128 v33, v[84:87] offset:416
	ds_write_b128 v33, v[88:91] offset:624
	;; [unrolled: 4-line block ×3, first 2 shown]
	s_and_saveexec_b64 s[8:9], s[0:1]
	s_cbranch_execz .LBB0_13
; %bb.12:
	v_accvgpr_read_b32 v0, a54
	v_accvgpr_read_b32 v1, a55
	v_mad_legacy_u16 v0, v0, 52, v1
	v_lshl_add_u32 v0, v0, 4, v118
	ds_write_b128 v0, v[172:175]
	ds_write_b128 v0, v[108:111] offset:208
	ds_write_b128 v0, v[104:107] offset:416
	;; [unrolled: 1-line block ×3, first 2 shown]
.LBB0_13:
	s_or_b64 exec, exec, s[8:9]
	s_waitcnt lgkmcnt(0)
	s_barrier
	s_and_saveexec_b64 s[0:1], s[2:3]
	s_cbranch_execz .LBB0_15
; %bb.14:
	ds_read_b128 v[52:55], v235
	ds_read_b128 v[56:59], v235 offset:832
	ds_read_b128 v[60:63], v235 offset:1664
	;; [unrolled: 1-line block ×16, first 2 shown]
.LBB0_15:
	s_or_b64 exec, exec, s[0:1]
	s_and_saveexec_b64 s[0:1], s[2:3]
	s_cbranch_execz .LBB0_17
; %bb.16:
	v_accvgpr_read_b32 v6, a102
	v_accvgpr_read_b32 v8, a104
	;; [unrolled: 1-line block ×5, first 2 shown]
	s_waitcnt lgkmcnt(8)
	v_mul_f64 v[4:5], v[8:9], v[176:177]
	v_accvgpr_read_b32 v16, a92
	v_accvgpr_read_b32 v17, a93
	v_mul_f64 v[0:1], v[8:9], v[178:179]
	v_fma_f64 v[8:9], v[6:7], v[178:179], -v[4:5]
	s_waitcnt lgkmcnt(7)
	v_mul_f64 v[4:5], v[162:163], v[180:181]
	v_accvgpr_read_b32 v15, a91
	v_mul_f64 v[12:13], v[16:17], v[88:89]
	v_accvgpr_read_b32 v22, a82
	v_fma_f64 v[10:11], v[160:161], v[182:183], -v[4:5]
	v_mul_f64 v[4:5], v[16:17], v[90:91]
	v_fma_f64 v[18:19], v[14:15], v[90:91], -v[12:13]
	v_accvgpr_read_b32 v24, a84
	v_accvgpr_read_b32 v25, a85
	;; [unrolled: 1-line block ×3, first 2 shown]
	v_mul_f64 v[40:41], v[136:137], v[72:73]
	v_mul_f64 v[44:45], v[130:131], v[70:71]
	v_accvgpr_read_b32 v90, a98
	s_waitcnt lgkmcnt(6)
	v_mul_f64 v[12:13], v[158:159], v[168:169]
	v_accvgpr_read_b32 v23, a83
	v_mul_f64 v[20:21], v[24:25], v[84:85]
	v_accvgpr_read_b32 v34, a96
	v_accvgpr_read_b32 v35, a97
	v_mul_f64 v[30:31], v[140:141], v[76:77]
	v_fma_f64 v[50:51], v[134:135], v[74:75], -v[40:41]
	s_waitcnt lgkmcnt(3)
	v_mul_f64 v[40:41], v[154:155], v[108:109]
	v_fmac_f64_e32 v[44:45], v[128:129], v[68:69]
	v_accvgpr_read_b32 v92, a100
	v_accvgpr_read_b32 v93, a101
	v_mul_f64 v[68:69], v[130:131], v[68:69]
	v_fma_f64 v[16:17], v[156:157], v[170:171], -v[12:13]
	v_mul_f64 v[12:13], v[150:151], v[114:115]
	v_fma_f64 v[26:27], v[22:23], v[86:87], -v[20:21]
	v_mul_f64 v[20:21], v[150:151], v[112:113]
	v_accvgpr_read_b32 v33, a95
	v_fma_f64 v[36:37], v[138:139], v[78:79], -v[30:31]
	v_mul_f64 v[30:31], v[34:35], v[172:173]
	v_fma_f64 v[42:43], v[152:153], v[110:111], -v[40:41]
	v_accvgpr_read_b32 v91, a99
	s_waitcnt lgkmcnt(2)
	v_mul_f64 v[40:41], v[92:93], v[106:107]
	v_fma_f64 v[116:117], v[128:129], v[70:71], -v[68:69]
	v_mul_f64 v[68:69], v[92:93], v[104:105]
	v_fmac_f64_e32 v[4:5], v[14:15], v[88:89]
	v_mul_f64 v[14:15], v[24:25], v[86:87]
	v_fmac_f64_e32 v[12:13], v[148:149], v[112:113]
	v_fma_f64 v[24:25], v[148:149], v[114:115], -v[20:21]
	v_mul_f64 v[20:21], v[34:35], v[174:175]
	v_fma_f64 v[34:35], v[32:33], v[174:175], -v[30:31]
	v_mul_f64 v[30:31], v[154:155], v[110:111]
	v_fmac_f64_e32 v[40:41], v[90:91], v[104:105]
	v_fma_f64 v[110:111], v[90:91], v[106:107], -v[68:69]
	v_mul_f64 v[112:113], v[126:127], v[62:63]
	v_accvgpr_read_b32 v93, a89
	v_fmac_f64_e32 v[112:113], v[124:125], v[60:61]
	v_accvgpr_read_b32 v92, a88
	v_mul_f64 v[60:61], v[126:127], v[60:61]
	v_fmac_f64_e32 v[20:21], v[32:33], v[172:173]
	v_mul_f64 v[32:33], v[136:137], v[74:75]
	v_fmac_f64_e32 v[30:31], v[152:153], v[108:109]
	v_accvgpr_read_b32 v91, a87
	v_accvgpr_read_b32 v90, a86
	s_waitcnt lgkmcnt(1)
	v_mul_f64 v[108:109], v[92:93], v[102:103]
	v_fma_f64 v[136:137], v[124:125], v[62:63], -v[60:61]
	v_mul_f64 v[60:61], v[92:93], v[100:101]
	s_waitcnt lgkmcnt(0)
	v_mov_b64_e32 v[94:95], v[142:143]
	v_fmac_f64_e32 v[108:109], v[90:91], v[100:101]
	v_fma_f64 v[124:125], v[90:91], v[102:103], -v[60:61]
	v_accvgpr_read_b32 v93, a81
	v_mov_b64_e32 v[96:97], v[144:145]
	v_mul_f64 v[126:127], v[122:123], v[58:59]
	v_accvgpr_read_b32 v92, a80
	v_fmac_f64_e32 v[126:127], v[120:121], v[56:57]
	v_accvgpr_read_b32 v91, a79
	v_accvgpr_read_b32 v90, a78
	v_mul_f64 v[118:119], v[92:93], v[96:97]
	v_mul_f64 v[56:57], v[122:123], v[56:57]
	v_fmac_f64_e32 v[0:1], v[6:7], v[176:177]
	v_mul_f64 v[6:7], v[158:159], v[170:171]
	v_fmac_f64_e32 v[118:119], v[90:91], v[94:95]
	s_mov_b32 s34, 0xacd6c6b4
	v_fma_f64 v[128:129], v[120:121], v[58:59], -v[56:57]
	v_mul_f64 v[56:57], v[92:93], v[94:95]
	v_fmac_f64_e32 v[6:7], v[156:157], v[168:169]
	s_mov_b32 s36, 0x5d8e7cdc
	v_add_f64 v[168:169], v[126:127], -v[118:119]
	s_mov_b32 s35, 0xbfc7851a
	v_fma_f64 v[120:121], v[90:91], v[96:97], -v[56:57]
	s_mov_b32 s28, 0x7faef3
	s_mov_b32 s26, 0x4363dd80
	v_add_f64 v[156:157], v[112:113], -v[108:109]
	s_mov_b32 s37, 0x3fd71e95
	s_mov_b32 s24, 0x370991
	v_mul_f64 v[62:63], v[168:169], s[34:35]
	v_add_f64 v[122:123], v[120:121], v[128:129]
	s_mov_b32 s29, 0xbfef7484
	v_fmac_f64_e32 v[14:15], v[22:23], v[84:85]
	v_mul_f64 v[22:23], v[140:141], v[78:79]
	v_fmac_f64_e32 v[32:33], v[134:135], v[72:73]
	s_mov_b32 s40, 0x2a9d6da3
	v_add_f64 v[150:151], v[44:45], -v[40:41]
	s_mov_b32 s27, 0xbfe0d888
	s_mov_b32 s22, 0x910ea3b9
	v_mul_f64 v[70:71], v[156:157], s[36:37]
	v_add_f64 v[130:131], v[124:125], v[136:137]
	s_mov_b32 s25, 0x3fedd6d0
	v_fma_f64 v[56:57], s[28:29], v[122:123], v[62:63]
	v_fmac_f64_e32 v[22:23], v[138:139], v[76:77]
	s_mov_b32 s20, 0x6c9a05f6
	v_add_f64 v[148:149], v[32:33], -v[30:31]
	s_mov_b32 s41, 0x3fe58eea
	s_mov_b32 s18, 0x75d4884
	v_mul_f64 v[74:75], v[150:151], s[26:27]
	v_add_f64 v[138:139], v[116:117], v[110:111]
	s_mov_b32 s23, 0xbfeb34fa
	v_fma_f64 v[60:61], s[24:25], v[130:131], v[70:71]
	v_add_f64 v[56:57], v[54:55], v[56:57]
	v_mul_f64 v[2:3], v[162:163], v[182:183]
	s_mov_b32 s30, 0x7c9e640b
	v_add_f64 v[146:147], v[22:23], -v[20:21]
	s_mov_b32 s21, 0xbfe9895b
	s_mov_b32 s16, 0x6ed5f1bb
	v_mul_f64 v[78:79], v[148:149], s[40:41]
	v_add_f64 v[134:135], v[50:51], v[42:43]
	s_mov_b32 s19, 0x3fe7a5f6
	v_fma_f64 v[68:69], s[22:23], v[138:139], v[74:75]
	v_add_f64 v[56:57], v[60:61], v[56:57]
	v_add_f64 v[182:183], v[128:129], -v[120:121]
	v_fmac_f64_e32 v[2:3], v[160:161], v[180:181]
	s_mov_b32 s14, 0x923c349f
	v_add_f64 v[132:133], v[14:15], -v[12:13]
	s_mov_b32 s31, 0x3feca52d
	s_mov_b32 s10, 0x2b2883cd
	v_mul_f64 v[86:87], v[146:147], s[20:21]
	v_add_f64 v[114:115], v[34:35], v[36:37]
	s_mov_b32 s17, 0xbfe348c8
	v_fma_f64 v[72:73], s[18:19], v[134:135], v[78:79]
	v_add_f64 v[56:57], v[68:69], v[56:57]
	v_add_f64 v[180:181], v[136:137], -v[124:125]
	v_add_f64 v[164:165], v[118:119], v[126:127]
	v_mul_f64 v[102:103], v[182:183], s[34:35]
	v_add_f64 v[144:145], v[4:5], -v[6:7]
	s_mov_b32 s15, 0xbfeec746
	s_mov_b32 s8, 0xc61f0d01
	v_mul_f64 v[88:89], v[132:133], s[30:31]
	v_add_f64 v[48:49], v[24:25], v[26:27]
	s_mov_b32 s11, 0x3fdc86fa
	v_fma_f64 v[76:77], s[16:17], v[114:115], v[86:87]
	v_add_f64 v[56:57], v[72:73], v[56:57]
	v_add_f64 v[178:179], v[116:117], -v[110:111]
	v_add_f64 v[162:163], v[108:109], v[112:113]
	v_mul_f64 v[98:99], v[180:181], s[36:37]
	v_fma_f64 v[104:105], v[164:165], s[28:29], -v[102:103]
	s_mov_b32 s46, 0xeb564b22
	v_mul_f64 v[80:81], v[144:145], s[14:15]
	v_add_f64 v[38:39], v[18:19], v[16:17]
	s_mov_b32 s9, 0xbfd183b1
	v_fma_f64 v[84:85], s[10:11], v[48:49], v[88:89]
	v_add_f64 v[56:57], v[76:77], v[56:57]
	v_add_f64 v[176:177], v[50:51], -v[42:43]
	v_add_f64 v[160:161], v[44:45], v[40:41]
	v_mul_f64 v[94:95], v[178:179], s[26:27]
	v_fma_f64 v[100:101], v[162:163], s[24:25], -v[98:99]
	v_add_f64 v[104:105], v[52:53], v[104:105]
	v_add_f64 v[46:47], v[0:1], -v[2:3]
	s_mov_b32 s47, 0x3fefdd0d
	s_mov_b32 s2, 0x3259b75e
	v_fma_f64 v[82:83], s[8:9], v[38:39], v[80:81]
	v_add_f64 v[56:57], v[84:85], v[56:57]
	v_add_f64 v[174:175], v[36:37], -v[34:35]
	v_add_f64 v[158:159], v[32:33], v[30:31]
	v_mul_f64 v[90:91], v[176:177], s[40:41]
	v_fma_f64 v[96:97], v[160:161], s[22:23], -v[94:95]
	v_add_f64 v[100:101], v[100:101], v[104:105]
	v_mul_f64 v[64:65], v[46:47], s[46:47]
	v_add_f64 v[28:29], v[8:9], v[10:11]
	s_mov_b32 s3, 0x3fb79ee6
	v_add_f64 v[56:57], v[82:83], v[56:57]
	v_add_f64 v[172:173], v[26:27], -v[24:25]
	v_add_f64 v[154:155], v[20:21], v[22:23]
	v_mul_f64 v[82:83], v[174:175], s[20:21]
	v_fma_f64 v[92:93], v[158:159], s[18:19], -v[90:91]
	v_add_f64 v[96:97], v[96:97], v[100:101]
	v_fma_f64 v[66:67], s[2:3], v[28:29], v[64:65]
	v_add_f64 v[170:171], v[18:19], -v[16:17]
	v_add_f64 v[152:153], v[12:13], v[14:15]
	v_mul_f64 v[72:73], v[172:173], s[30:31]
	v_fma_f64 v[84:85], v[154:155], s[16:17], -v[82:83]
	v_add_f64 v[92:93], v[92:93], v[96:97]
	v_fma_f64 v[62:63], v[122:123], s[28:29], -v[62:63]
	v_add_f64 v[58:59], v[66:67], v[56:57]
	v_add_f64 v[166:167], v[8:9], -v[10:11]
	v_add_f64 v[142:143], v[4:5], v[6:7]
	v_mul_f64 v[66:67], v[170:171], s[14:15]
	v_fma_f64 v[76:77], v[152:153], s[10:11], -v[72:73]
	v_add_f64 v[84:85], v[84:85], v[92:93]
	v_fma_f64 v[70:71], v[130:131], s[24:25], -v[70:71]
	v_add_f64 v[62:63], v[54:55], v[62:63]
	v_add_f64 v[140:141], v[0:1], v[2:3]
	v_mul_f64 v[60:61], v[166:167], s[46:47]
	v_fma_f64 v[68:69], v[142:143], s[8:9], -v[66:67]
	v_add_f64 v[76:77], v[76:77], v[84:85]
	v_fma_f64 v[74:75], v[138:139], s[22:23], -v[74:75]
	v_add_f64 v[62:63], v[70:71], v[62:63]
	;; [unrolled: 2-line block ×4, first 2 shown]
	v_add_f64 v[56:57], v[56:57], v[68:69]
	v_fma_f64 v[68:69], v[38:39], s[8:9], -v[80:81]
	v_fma_f64 v[80:81], v[114:115], s[16:17], -v[86:87]
	v_add_f64 v[62:63], v[78:79], v[62:63]
	v_fma_f64 v[76:77], v[48:49], s[10:11], -v[88:89]
	v_add_f64 v[62:63], v[80:81], v[62:63]
	v_add_f64 v[62:63], v[76:77], v[62:63]
	v_fma_f64 v[64:65], v[28:29], s[2:3], -v[64:65]
	v_add_f64 v[62:63], v[68:69], v[62:63]
	v_fmac_f64_e32 v[102:103], s[28:29], v[164:165]
	v_add_f64 v[62:63], v[64:65], v[62:63]
	v_fmac_f64_e32 v[98:99], s[24:25], v[162:163]
	;; [unrolled: 2-line block ×3, first 2 shown]
	v_add_f64 v[64:65], v[98:99], v[64:65]
	v_mul_f64 v[92:93], v[168:169], s[26:27]
	v_fmac_f64_e32 v[90:91], s[18:19], v[158:159]
	v_add_f64 v[64:65], v[94:95], v[64:65]
	s_mov_b32 s43, 0xbfefdd0d
	s_mov_b32 s42, s46
	v_mul_f64 v[88:89], v[156:157], s[30:31]
	v_fma_f64 v[94:95], s[22:23], v[122:123], v[92:93]
	v_mul_f64 v[186:187], v[182:183], s[26:27]
	v_add_f64 v[64:65], v[90:91], v[64:65]
	s_mov_b32 s53, 0x3fe9895b
	s_mov_b32 s52, s20
	v_mul_f64 v[84:85], v[150:151], s[42:43]
	v_fma_f64 v[90:91], s[10:11], v[130:131], v[88:89]
	v_add_f64 v[94:95], v[54:55], v[94:95]
	v_mul_f64 v[106:107], v[180:181], s[30:31]
	v_fma_f64 v[188:189], v[164:165], s[22:23], -v[186:187]
	v_fmac_f64_e32 v[82:83], s[16:17], v[154:155]
	s_mov_b32 s39, 0xbfd71e95
	s_mov_b32 s38, s36
	v_mul_f64 v[80:81], v[148:149], s[52:53]
	v_fma_f64 v[86:87], s[2:3], v[138:139], v[84:85]
	v_add_f64 v[90:91], v[90:91], v[94:95]
	v_mul_f64 v[102:103], v[178:179], s[42:43]
	v_fma_f64 v[184:185], v[162:163], s[10:11], -v[106:107]
	v_add_f64 v[188:189], v[52:53], v[188:189]
	v_fmac_f64_e32 v[72:73], s[10:11], v[152:153]
	v_add_f64 v[64:65], v[82:83], v[64:65]
	v_mul_f64 v[76:77], v[146:147], s[38:39]
	v_fma_f64 v[82:83], s[16:17], v[134:135], v[80:81]
	v_add_f64 v[86:87], v[86:87], v[90:91]
	v_mul_f64 v[98:99], v[176:177], s[52:53]
	v_fma_f64 v[104:105], v[160:161], s[2:3], -v[102:103]
	v_add_f64 v[184:185], v[184:185], v[188:189]
	v_add_f64 v[64:65], v[72:73], v[64:65]
	v_mul_f64 v[72:73], v[132:133], s[34:35]
	v_fma_f64 v[78:79], s[24:25], v[114:115], v[76:77]
	v_add_f64 v[82:83], v[82:83], v[86:87]
	v_mul_f64 v[94:95], v[174:175], s[38:39]
	v_fma_f64 v[100:101], v[158:159], s[16:17], -v[98:99]
	v_add_f64 v[104:105], v[104:105], v[184:185]
	v_fmac_f64_e32 v[66:67], s[8:9], v[142:143]
	v_mul_f64 v[70:71], v[144:145], s[40:41]
	v_fma_f64 v[74:75], s[28:29], v[48:49], v[72:73]
	v_add_f64 v[78:79], v[78:79], v[82:83]
	v_mul_f64 v[86:87], v[172:173], s[34:35]
	v_fma_f64 v[96:97], v[154:155], s[24:25], -v[94:95]
	v_add_f64 v[100:101], v[100:101], v[104:105]
	v_fmac_f64_e32 v[60:61], s[2:3], v[140:141]
	v_add_f64 v[64:65], v[66:67], v[64:65]
	v_mul_f64 v[68:69], v[46:47], s[14:15]
	v_fma_f64 v[66:67], s[18:19], v[38:39], v[70:71]
	v_add_f64 v[74:75], v[74:75], v[78:79]
	v_mul_f64 v[78:79], v[170:171], s[40:41]
	v_fma_f64 v[90:91], v[152:153], s[28:29], -v[86:87]
	v_add_f64 v[96:97], v[96:97], v[100:101]
	v_add_f64 v[60:61], v[60:61], v[64:65]
	v_fma_f64 v[64:65], s[8:9], v[28:29], v[68:69]
	v_add_f64 v[66:67], v[66:67], v[74:75]
	v_mul_f64 v[74:75], v[166:167], s[14:15]
	v_fma_f64 v[82:83], v[142:143], s[18:19], -v[78:79]
	v_add_f64 v[90:91], v[90:91], v[96:97]
	v_add_f64 v[66:67], v[64:65], v[66:67]
	v_fma_f64 v[64:65], v[140:141], s[8:9], -v[74:75]
	v_add_f64 v[82:83], v[82:83], v[90:91]
	v_add_f64 v[64:65], v[64:65], v[82:83]
	v_fma_f64 v[82:83], v[138:139], s[2:3], -v[84:85]
	v_fma_f64 v[84:85], v[130:131], s[10:11], -v[88:89]
	;; [unrolled: 1-line block ×3, first 2 shown]
	v_add_f64 v[88:89], v[54:55], v[88:89]
	v_add_f64 v[84:85], v[84:85], v[88:89]
	v_fma_f64 v[80:81], v[134:135], s[16:17], -v[80:81]
	v_add_f64 v[82:83], v[82:83], v[84:85]
	v_fma_f64 v[76:77], v[114:115], s[24:25], -v[76:77]
	;; [unrolled: 2-line block ×5, first 2 shown]
	v_add_f64 v[70:71], v[70:71], v[72:73]
	v_fmac_f64_e32 v[186:187], s[22:23], v[164:165]
	v_add_f64 v[70:71], v[68:69], v[70:71]
	v_fmac_f64_e32 v[106:107], s[10:11], v[162:163]
	;; [unrolled: 2-line block ×3, first 2 shown]
	v_add_f64 v[68:69], v[106:107], v[68:69]
	s_mov_b32 s51, 0x3feec746
	s_mov_b32 s50, s14
	v_mul_f64 v[100:101], v[168:169], s[20:21]
	v_fmac_f64_e32 v[98:99], s[16:17], v[158:159]
	v_add_f64 v[68:69], v[102:103], v[68:69]
	v_mul_f64 v[96:97], v[156:157], s[50:51]
	v_fma_f64 v[102:103], s[16:17], v[122:123], v[100:101]
	v_mul_f64 v[194:195], v[182:183], s[20:21]
	v_fmac_f64_e32 v[94:95], s[24:25], v[154:155]
	v_add_f64 v[68:69], v[98:99], v[68:69]
	v_mul_f64 v[92:93], v[150:151], s[38:39]
	v_fma_f64 v[98:99], s[8:9], v[130:131], v[96:97]
	v_add_f64 v[102:103], v[54:55], v[102:103]
	v_mul_f64 v[190:191], v[180:181], s[50:51]
	v_fma_f64 v[196:197], v[164:165], s[16:17], -v[194:195]
	v_add_f64 v[68:69], v[94:95], v[68:69]
	v_mul_f64 v[88:89], v[148:149], s[26:27]
	v_fma_f64 v[94:95], s[24:25], v[138:139], v[92:93]
	v_add_f64 v[98:99], v[98:99], v[102:103]
	v_mul_f64 v[186:187], v[178:179], s[38:39]
	v_fma_f64 v[192:193], v[162:163], s[8:9], -v[190:191]
	v_add_f64 v[196:197], v[52:53], v[196:197]
	v_fmac_f64_e32 v[86:87], s[28:29], v[152:153]
	s_mov_b32 s45, 0xbfe58eea
	s_mov_b32 s44, s40
	v_mul_f64 v[84:85], v[146:147], s[46:47]
	v_fma_f64 v[90:91], s[22:23], v[134:135], v[88:89]
	v_add_f64 v[94:95], v[94:95], v[98:99]
	v_mul_f64 v[106:107], v[176:177], s[26:27]
	v_fma_f64 v[188:189], v[160:161], s[24:25], -v[186:187]
	v_add_f64 v[192:193], v[192:193], v[196:197]
	v_fmac_f64_e32 v[78:79], s[18:19], v[142:143]
	v_add_f64 v[68:69], v[86:87], v[68:69]
	v_mul_f64 v[80:81], v[132:133], s[44:45]
	v_fma_f64 v[86:87], s[2:3], v[114:115], v[84:85]
	v_add_f64 v[90:91], v[90:91], v[94:95]
	v_mul_f64 v[102:103], v[174:175], s[46:47]
	v_fma_f64 v[184:185], v[158:159], s[22:23], -v[106:107]
	v_add_f64 v[188:189], v[188:189], v[192:193]
	v_fmac_f64_e32 v[74:75], s[8:9], v[140:141]
	v_add_f64 v[68:69], v[78:79], v[68:69]
	v_mul_f64 v[78:79], v[144:145], s[34:35]
	v_fma_f64 v[82:83], s[18:19], v[48:49], v[80:81]
	v_add_f64 v[86:87], v[86:87], v[90:91]
	v_mul_f64 v[94:95], v[172:173], s[44:45]
	v_fma_f64 v[104:105], v[154:155], s[2:3], -v[102:103]
	v_add_f64 v[184:185], v[184:185], v[188:189]
	v_add_f64 v[68:69], v[74:75], v[68:69]
	v_mul_f64 v[76:77], v[46:47], s[30:31]
	v_fma_f64 v[74:75], s[28:29], v[38:39], v[78:79]
	v_add_f64 v[82:83], v[82:83], v[86:87]
	v_mul_f64 v[86:87], v[170:171], s[34:35]
	v_fma_f64 v[98:99], v[152:153], s[18:19], -v[94:95]
	v_add_f64 v[104:105], v[104:105], v[184:185]
	v_fma_f64 v[72:73], s[10:11], v[28:29], v[76:77]
	v_add_f64 v[74:75], v[74:75], v[82:83]
	v_mul_f64 v[82:83], v[166:167], s[30:31]
	v_fma_f64 v[90:91], v[142:143], s[28:29], -v[86:87]
	v_add_f64 v[98:99], v[98:99], v[104:105]
	v_add_f64 v[74:75], v[72:73], v[74:75]
	v_fma_f64 v[72:73], v[140:141], s[10:11], -v[82:83]
	v_add_f64 v[90:91], v[90:91], v[98:99]
	v_add_f64 v[72:73], v[72:73], v[90:91]
	v_fma_f64 v[90:91], v[138:139], s[24:25], -v[92:93]
	v_fma_f64 v[92:93], v[130:131], s[8:9], -v[96:97]
	;; [unrolled: 1-line block ×3, first 2 shown]
	v_add_f64 v[96:97], v[54:55], v[96:97]
	v_add_f64 v[92:93], v[92:93], v[96:97]
	v_fma_f64 v[88:89], v[134:135], s[22:23], -v[88:89]
	v_add_f64 v[90:91], v[90:91], v[92:93]
	v_fma_f64 v[84:85], v[114:115], s[2:3], -v[84:85]
	;; [unrolled: 2-line block ×5, first 2 shown]
	v_add_f64 v[78:79], v[78:79], v[80:81]
	v_fmac_f64_e32 v[194:195], s[16:17], v[164:165]
	v_add_f64 v[78:79], v[76:77], v[78:79]
	v_fmac_f64_e32 v[190:191], s[8:9], v[162:163]
	;; [unrolled: 2-line block ×3, first 2 shown]
	v_add_f64 v[76:77], v[190:191], v[76:77]
	s_mov_b32 s55, 0x3fe0d888
	s_mov_b32 s54, s26
	v_mul_f64 v[184:185], v[168:169], s[14:15]
	v_fmac_f64_e32 v[106:107], s[22:23], v[158:159]
	v_add_f64 v[76:77], v[186:187], v[76:77]
	v_mul_f64 v[104:105], v[156:157], s[54:55]
	v_fma_f64 v[186:187], s[8:9], v[122:123], v[184:185]
	v_mul_f64 v[202:203], v[182:183], s[14:15]
	v_fmac_f64_e32 v[102:103], s[2:3], v[154:155]
	v_add_f64 v[76:77], v[106:107], v[76:77]
	s_mov_b32 s49, 0xbfeca52d
	s_mov_b32 s48, s30
	v_mul_f64 v[100:101], v[150:151], s[40:41]
	v_fma_f64 v[106:107], s[22:23], v[130:131], v[104:105]
	v_add_f64 v[186:187], v[54:55], v[186:187]
	v_mul_f64 v[198:199], v[180:181], s[54:55]
	v_fma_f64 v[204:205], v[164:165], s[8:9], -v[202:203]
	v_add_f64 v[76:77], v[102:103], v[76:77]
	v_mul_f64 v[96:97], v[148:149], s[48:49]
	v_fma_f64 v[102:103], s[18:19], v[138:139], v[100:101]
	v_add_f64 v[106:107], v[106:107], v[186:187]
	v_mul_f64 v[194:195], v[178:179], s[40:41]
	v_fma_f64 v[200:201], v[162:163], s[22:23], -v[198:199]
	v_add_f64 v[204:205], v[52:53], v[204:205]
	v_fmac_f64_e32 v[94:95], s[18:19], v[152:153]
	v_mul_f64 v[92:93], v[146:147], s[34:35]
	v_fma_f64 v[98:99], s[10:11], v[134:135], v[96:97]
	v_add_f64 v[102:103], v[102:103], v[106:107]
	v_mul_f64 v[190:191], v[176:177], s[48:49]
	v_fma_f64 v[196:197], v[160:161], s[18:19], -v[194:195]
	v_add_f64 v[200:201], v[200:201], v[204:205]
	v_fmac_f64_e32 v[86:87], s[28:29], v[142:143]
	v_add_f64 v[76:77], v[94:95], v[76:77]
	v_mul_f64 v[88:89], v[132:133], s[46:47]
	v_fma_f64 v[94:95], s[28:29], v[114:115], v[92:93]
	v_add_f64 v[98:99], v[98:99], v[102:103]
	v_mul_f64 v[186:187], v[174:175], s[34:35]
	v_fma_f64 v[192:193], v[158:159], s[10:11], -v[190:191]
	v_add_f64 v[196:197], v[196:197], v[200:201]
	v_fmac_f64_e32 v[82:83], s[10:11], v[140:141]
	v_add_f64 v[76:77], v[86:87], v[76:77]
	v_mul_f64 v[86:87], v[144:145], s[38:39]
	v_fma_f64 v[90:91], s[2:3], v[48:49], v[88:89]
	v_add_f64 v[94:95], v[94:95], v[98:99]
	v_mul_f64 v[102:103], v[172:173], s[46:47]
	v_fma_f64 v[188:189], v[154:155], s[28:29], -v[186:187]
	v_add_f64 v[192:193], v[192:193], v[196:197]
	v_add_f64 v[76:77], v[82:83], v[76:77]
	v_mul_f64 v[84:85], v[46:47], s[20:21]
	v_fma_f64 v[82:83], s[24:25], v[38:39], v[86:87]
	v_add_f64 v[90:91], v[90:91], v[94:95]
	v_mul_f64 v[94:95], v[170:171], s[38:39]
	v_fma_f64 v[106:107], v[152:153], s[2:3], -v[102:103]
	v_add_f64 v[188:189], v[188:189], v[192:193]
	v_fma_f64 v[80:81], s[16:17], v[28:29], v[84:85]
	v_add_f64 v[82:83], v[82:83], v[90:91]
	v_mul_f64 v[90:91], v[166:167], s[20:21]
	v_fma_f64 v[98:99], v[142:143], s[24:25], -v[94:95]
	v_add_f64 v[106:107], v[106:107], v[188:189]
	v_add_f64 v[82:83], v[80:81], v[82:83]
	v_fma_f64 v[80:81], v[140:141], s[16:17], -v[90:91]
	v_add_f64 v[98:99], v[98:99], v[106:107]
	v_add_f64 v[80:81], v[80:81], v[98:99]
	v_fma_f64 v[98:99], v[138:139], s[18:19], -v[100:101]
	v_fma_f64 v[100:101], v[130:131], s[22:23], -v[104:105]
	;; [unrolled: 1-line block ×3, first 2 shown]
	v_add_f64 v[104:105], v[54:55], v[104:105]
	v_add_f64 v[100:101], v[100:101], v[104:105]
	v_fma_f64 v[96:97], v[134:135], s[10:11], -v[96:97]
	v_add_f64 v[98:99], v[98:99], v[100:101]
	v_fma_f64 v[92:93], v[114:115], s[28:29], -v[92:93]
	;; [unrolled: 2-line block ×5, first 2 shown]
	v_add_f64 v[86:87], v[86:87], v[88:89]
	v_fmac_f64_e32 v[202:203], s[8:9], v[164:165]
	v_add_f64 v[86:87], v[84:85], v[86:87]
	v_fmac_f64_e32 v[198:199], s[22:23], v[162:163]
	;; [unrolled: 2-line block ×3, first 2 shown]
	v_add_f64 v[84:85], v[198:199], v[84:85]
	v_mul_f64 v[192:193], v[168:169], s[42:43]
	v_fmac_f64_e32 v[190:191], s[10:11], v[158:159]
	v_add_f64 v[84:85], v[194:195], v[84:85]
	v_mul_f64 v[188:189], v[156:157], s[34:35]
	v_fma_f64 v[194:195], s[2:3], v[122:123], v[192:193]
	v_mul_f64 v[210:211], v[182:183], s[42:43]
	v_fmac_f64_e32 v[186:187], s[28:29], v[154:155]
	v_add_f64 v[84:85], v[190:191], v[84:85]
	v_mul_f64 v[184:185], v[150:151], s[50:51]
	v_fma_f64 v[190:191], s[28:29], v[130:131], v[188:189]
	v_add_f64 v[194:195], v[54:55], v[194:195]
	v_mul_f64 v[206:207], v[180:181], s[34:35]
	v_fma_f64 v[212:213], v[164:165], s[2:3], -v[210:211]
	v_add_f64 v[84:85], v[186:187], v[84:85]
	v_mul_f64 v[104:105], v[148:149], s[36:37]
	v_fma_f64 v[186:187], s[8:9], v[138:139], v[184:185]
	v_add_f64 v[190:191], v[190:191], v[194:195]
	v_mul_f64 v[202:203], v[178:179], s[50:51]
	v_fma_f64 v[208:209], v[162:163], s[28:29], -v[206:207]
	v_add_f64 v[212:213], v[52:53], v[212:213]
	v_fmac_f64_e32 v[102:103], s[2:3], v[152:153]
	v_mul_f64 v[100:101], v[146:147], s[48:49]
	v_fma_f64 v[106:107], s[24:25], v[134:135], v[104:105]
	v_add_f64 v[186:187], v[186:187], v[190:191]
	v_mul_f64 v[198:199], v[176:177], s[36:37]
	v_fma_f64 v[204:205], v[160:161], s[8:9], -v[202:203]
	v_add_f64 v[208:209], v[208:209], v[212:213]
	v_fmac_f64_e32 v[94:95], s[24:25], v[142:143]
	v_add_f64 v[84:85], v[102:103], v[84:85]
	v_mul_f64 v[96:97], v[132:133], s[26:27]
	v_fma_f64 v[102:103], s[10:11], v[114:115], v[100:101]
	v_add_f64 v[106:107], v[106:107], v[186:187]
	v_mul_f64 v[194:195], v[174:175], s[48:49]
	v_fma_f64 v[200:201], v[158:159], s[24:25], -v[198:199]
	v_add_f64 v[204:205], v[204:205], v[208:209]
	v_fmac_f64_e32 v[90:91], s[16:17], v[140:141]
	v_add_f64 v[84:85], v[94:95], v[84:85]
	v_mul_f64 v[94:95], v[144:145], s[52:53]
	v_fma_f64 v[98:99], s[22:23], v[48:49], v[96:97]
	v_add_f64 v[102:103], v[102:103], v[106:107]
	v_mul_f64 v[186:187], v[172:173], s[26:27]
	v_fma_f64 v[196:197], v[154:155], s[10:11], -v[194:195]
	v_add_f64 v[200:201], v[200:201], v[204:205]
	v_add_f64 v[84:85], v[90:91], v[84:85]
	v_mul_f64 v[92:93], v[46:47], s[40:41]
	v_fma_f64 v[90:91], s[16:17], v[38:39], v[94:95]
	v_add_f64 v[98:99], v[98:99], v[102:103]
	v_mul_f64 v[102:103], v[170:171], s[52:53]
	v_fma_f64 v[190:191], v[152:153], s[22:23], -v[186:187]
	v_add_f64 v[196:197], v[196:197], v[200:201]
	v_fma_f64 v[88:89], s[18:19], v[28:29], v[92:93]
	v_add_f64 v[90:91], v[90:91], v[98:99]
	v_mul_f64 v[98:99], v[166:167], s[40:41]
	v_fma_f64 v[106:107], v[142:143], s[16:17], -v[102:103]
	v_add_f64 v[190:191], v[190:191], v[196:197]
	v_add_f64 v[90:91], v[88:89], v[90:91]
	v_fma_f64 v[88:89], v[140:141], s[18:19], -v[98:99]
	v_add_f64 v[106:107], v[106:107], v[190:191]
	v_add_f64 v[88:89], v[88:89], v[106:107]
	v_fma_f64 v[106:107], v[138:139], s[8:9], -v[184:185]
	v_fma_f64 v[184:185], v[130:131], s[28:29], -v[188:189]
	;; [unrolled: 1-line block ×3, first 2 shown]
	v_add_f64 v[188:189], v[54:55], v[188:189]
	v_add_f64 v[184:185], v[184:185], v[188:189]
	v_fma_f64 v[104:105], v[134:135], s[24:25], -v[104:105]
	v_add_f64 v[106:107], v[106:107], v[184:185]
	v_fma_f64 v[100:101], v[114:115], s[10:11], -v[100:101]
	;; [unrolled: 2-line block ×5, first 2 shown]
	v_add_f64 v[94:95], v[94:95], v[96:97]
	v_fmac_f64_e32 v[210:211], s[2:3], v[164:165]
	v_add_f64 v[94:95], v[92:93], v[94:95]
	v_fmac_f64_e32 v[206:207], s[28:29], v[162:163]
	;; [unrolled: 2-line block ×3, first 2 shown]
	v_add_f64 v[92:93], v[206:207], v[92:93]
	v_mul_f64 v[200:201], v[168:169], s[48:49]
	v_fmac_f64_e32 v[198:199], s[24:25], v[158:159]
	v_add_f64 v[92:93], v[202:203], v[92:93]
	s_mov_b32 s47, 0x3fc7851a
	s_mov_b32 s46, s34
	v_mul_f64 v[196:197], v[156:157], s[20:21]
	v_fma_f64 v[202:203], s[10:11], v[122:123], v[200:201]
	v_mul_f64 v[218:219], v[182:183], s[48:49]
	v_fmac_f64_e32 v[194:195], s[10:11], v[154:155]
	v_add_f64 v[92:93], v[198:199], v[92:93]
	v_mul_f64 v[192:193], v[150:151], s[46:47]
	v_fma_f64 v[198:199], s[16:17], v[130:131], v[196:197]
	v_add_f64 v[202:203], v[54:55], v[202:203]
	v_mul_f64 v[214:215], v[180:181], s[20:21]
	v_fma_f64 v[220:221], v[164:165], s[10:11], -v[218:219]
	v_add_f64 v[92:93], v[194:195], v[92:93]
	v_mul_f64 v[188:189], v[148:149], s[50:51]
	v_fma_f64 v[194:195], s[28:29], v[138:139], v[192:193]
	v_add_f64 v[198:199], v[198:199], v[202:203]
	v_mul_f64 v[210:211], v[178:179], s[46:47]
	v_fma_f64 v[216:217], v[162:163], s[16:17], -v[214:215]
	v_add_f64 v[220:221], v[52:53], v[220:221]
	v_fmac_f64_e32 v[186:187], s[22:23], v[152:153]
	v_mul_f64 v[184:185], v[146:147], s[40:41]
	v_fma_f64 v[190:191], s[8:9], v[134:135], v[188:189]
	v_add_f64 v[194:195], v[194:195], v[198:199]
	v_mul_f64 v[206:207], v[176:177], s[50:51]
	v_fma_f64 v[212:213], v[160:161], s[28:29], -v[210:211]
	v_add_f64 v[216:217], v[216:217], v[220:221]
	v_fmac_f64_e32 v[102:103], s[16:17], v[142:143]
	v_add_f64 v[92:93], v[186:187], v[92:93]
	v_mul_f64 v[104:105], v[132:133], s[38:39]
	v_fma_f64 v[186:187], s[18:19], v[114:115], v[184:185]
	v_add_f64 v[190:191], v[190:191], v[194:195]
	v_mul_f64 v[202:203], v[174:175], s[40:41]
	v_fma_f64 v[208:209], v[158:159], s[8:9], -v[206:207]
	v_add_f64 v[212:213], v[212:213], v[216:217]
	v_fmac_f64_e32 v[98:99], s[18:19], v[140:141]
	v_add_f64 v[92:93], v[102:103], v[92:93]
	v_mul_f64 v[102:103], v[144:145], s[42:43]
	v_fma_f64 v[106:107], s[24:25], v[48:49], v[104:105]
	v_add_f64 v[186:187], v[186:187], v[190:191]
	v_mul_f64 v[194:195], v[172:173], s[38:39]
	v_fma_f64 v[204:205], v[154:155], s[18:19], -v[202:203]
	v_add_f64 v[208:209], v[208:209], v[212:213]
	v_add_f64 v[92:93], v[98:99], v[92:93]
	v_mul_f64 v[100:101], v[46:47], s[26:27]
	v_fma_f64 v[98:99], s[2:3], v[38:39], v[102:103]
	v_add_f64 v[106:107], v[106:107], v[186:187]
	v_mul_f64 v[190:191], v[170:171], s[42:43]
	v_fma_f64 v[198:199], v[152:153], s[24:25], -v[194:195]
	v_add_f64 v[204:205], v[204:205], v[208:209]
	v_fma_f64 v[96:97], s[22:23], v[28:29], v[100:101]
	v_add_f64 v[98:99], v[98:99], v[106:107]
	v_mul_f64 v[186:187], v[166:167], s[26:27]
	v_fma_f64 v[106:107], v[142:143], s[2:3], -v[190:191]
	v_add_f64 v[198:199], v[198:199], v[204:205]
	v_add_f64 v[98:99], v[96:97], v[98:99]
	v_fma_f64 v[96:97], v[140:141], s[22:23], -v[186:187]
	v_add_f64 v[106:107], v[106:107], v[198:199]
	v_add_f64 v[96:97], v[96:97], v[106:107]
	v_fma_f64 v[106:107], v[114:115], s[18:19], -v[184:185]
	v_fma_f64 v[184:185], v[134:135], s[8:9], -v[188:189]
	;; [unrolled: 1-line block ×5, first 2 shown]
	v_add_f64 v[196:197], v[54:55], v[196:197]
	v_add_f64 v[192:193], v[192:193], v[196:197]
	;; [unrolled: 1-line block ×4, first 2 shown]
	v_fma_f64 v[104:105], v[48:49], s[24:25], -v[104:105]
	v_add_f64 v[106:107], v[106:107], v[184:185]
	v_fma_f64 v[102:103], v[38:39], s[2:3], -v[102:103]
	v_add_f64 v[104:105], v[104:105], v[106:107]
	;; [unrolled: 2-line block ×3, first 2 shown]
	v_fmac_f64_e32 v[218:219], s[10:11], v[164:165]
	v_add_f64 v[106:107], v[100:101], v[102:103]
	v_fmac_f64_e32 v[214:215], s[16:17], v[162:163]
	v_add_f64 v[100:101], v[52:53], v[218:219]
	;; [unrolled: 2-line block ×3, first 2 shown]
	v_mul_f64 v[208:209], v[168:169], s[44:45]
	v_fmac_f64_e32 v[206:207], s[8:9], v[158:159]
	v_add_f64 v[100:101], v[210:211], v[100:101]
	v_mul_f64 v[204:205], v[156:157], s[42:43]
	v_fma_f64 v[210:211], s[18:19], v[122:123], v[208:209]
	v_mul_f64 v[226:227], v[182:183], s[44:45]
	v_fmac_f64_e32 v[202:203], s[18:19], v[154:155]
	v_add_f64 v[100:101], v[206:207], v[100:101]
	v_mul_f64 v[200:201], v[150:151], s[20:21]
	v_fma_f64 v[206:207], s[2:3], v[130:131], v[204:205]
	v_add_f64 v[210:211], v[54:55], v[210:211]
	v_mul_f64 v[222:223], v[180:181], s[42:43]
	v_fma_f64 v[228:229], v[164:165], s[18:19], -v[226:227]
	v_fmac_f64_e32 v[194:195], s[24:25], v[152:153]
	v_add_f64 v[100:101], v[202:203], v[100:101]
	v_mul_f64 v[196:197], v[148:149], s[34:35]
	v_fma_f64 v[202:203], s[16:17], v[138:139], v[200:201]
	v_add_f64 v[206:207], v[206:207], v[210:211]
	v_mul_f64 v[218:219], v[178:179], s[20:21]
	v_fma_f64 v[224:225], v[162:163], s[2:3], -v[222:223]
	v_add_f64 v[228:229], v[52:53], v[228:229]
	v_fmac_f64_e32 v[190:191], s[2:3], v[142:143]
	v_add_f64 v[100:101], v[194:195], v[100:101]
	v_mul_f64 v[192:193], v[146:147], s[54:55]
	v_fma_f64 v[198:199], s[28:29], v[134:135], v[196:197]
	v_add_f64 v[202:203], v[202:203], v[206:207]
	v_mul_f64 v[214:215], v[176:177], s[34:35]
	v_fma_f64 v[220:221], v[160:161], s[16:17], -v[218:219]
	v_add_f64 v[224:225], v[224:225], v[228:229]
	;; [unrolled: 8-line block ×3, first 2 shown]
	v_add_f64 v[104:105], v[186:187], v[100:101]
	v_mul_f64 v[186:187], v[144:145], s[30:31]
	v_fma_f64 v[190:191], s[8:9], v[48:49], v[188:189]
	v_add_f64 v[194:195], v[194:195], v[198:199]
	v_mul_f64 v[202:203], v[172:173], s[50:51]
	v_fma_f64 v[212:213], v[154:155], s[22:23], -v[210:211]
	v_add_f64 v[216:217], v[216:217], v[220:221]
	v_mul_f64 v[184:185], v[46:47], s[36:37]
	v_fma_f64 v[102:103], s[10:11], v[38:39], v[186:187]
	v_add_f64 v[190:191], v[190:191], v[194:195]
	v_mul_f64 v[194:195], v[170:171], s[30:31]
	v_fma_f64 v[206:207], v[152:153], s[8:9], -v[202:203]
	v_add_f64 v[212:213], v[212:213], v[216:217]
	v_fma_f64 v[100:101], s[24:25], v[28:29], v[184:185]
	v_add_f64 v[102:103], v[102:103], v[190:191]
	v_mul_f64 v[190:191], v[166:167], s[36:37]
	v_fma_f64 v[198:199], v[142:143], s[10:11], -v[194:195]
	v_add_f64 v[206:207], v[206:207], v[212:213]
	v_add_f64 v[102:103], v[100:101], v[102:103]
	v_fma_f64 v[100:101], v[140:141], s[24:25], -v[190:191]
	v_add_f64 v[198:199], v[198:199], v[206:207]
	v_add_f64 v[100:101], v[100:101], v[198:199]
	v_fma_f64 v[198:199], v[138:139], s[16:17], -v[200:201]
	v_fma_f64 v[200:201], v[130:131], s[2:3], -v[204:205]
	v_fma_f64 v[204:205], v[122:123], s[18:19], -v[208:209]
	v_add_f64 v[204:205], v[54:55], v[204:205]
	v_add_f64 v[200:201], v[200:201], v[204:205]
	v_fma_f64 v[196:197], v[134:135], s[28:29], -v[196:197]
	v_add_f64 v[198:199], v[198:199], v[200:201]
	v_fma_f64 v[192:193], v[114:115], s[22:23], -v[192:193]
	;; [unrolled: 2-line block ×5, first 2 shown]
	v_add_f64 v[186:187], v[186:187], v[188:189]
	v_fmac_f64_e32 v[226:227], s[18:19], v[164:165]
	v_add_f64 v[186:187], v[184:185], v[186:187]
	v_fmac_f64_e32 v[222:223], s[2:3], v[162:163]
	;; [unrolled: 2-line block ×6, first 2 shown]
	v_add_f64 v[184:185], v[210:211], v[184:185]
	v_mul_f64 v[168:169], v[168:169], s[38:39]
	v_add_f64 v[184:185], v[202:203], v[184:185]
	v_mul_f64 v[156:157], v[156:157], s[44:45]
	v_fma_f64 v[202:203], s[24:25], v[122:123], v[168:169]
	v_fma_f64 v[122:123], v[122:123], s[24:25], -v[168:169]
	v_fmac_f64_e32 v[194:195], s[10:11], v[142:143]
	v_mul_f64 v[46:47], v[46:47], s[34:35]
	v_mul_f64 v[132:133], v[132:133], s[20:21]
	;; [unrolled: 1-line block ×3, first 2 shown]
	v_fma_f64 v[200:201], s[18:19], v[130:131], v[156:157]
	v_fma_f64 v[130:131], v[130:131], s[18:19], -v[156:157]
	v_add_f64 v[122:123], v[54:55], v[122:123]
	v_add_f64 v[184:185], v[194:195], v[184:185]
	v_fma_f64 v[188:189], s[28:29], v[28:29], v[46:47]
	v_fma_f64 v[192:193], s[16:17], v[48:49], v[132:133]
	v_mul_f64 v[194:195], v[146:147], s[14:15]
	v_mul_f64 v[148:149], v[148:149], s[42:43]
	v_fma_f64 v[28:29], v[28:29], s[28:29], -v[46:47]
	v_fma_f64 v[46:47], v[48:49], s[16:17], -v[132:133]
	;; [unrolled: 1-line block ×3, first 2 shown]
	v_add_f64 v[122:123], v[130:131], v[122:123]
	v_fma_f64 v[146:147], s[8:9], v[114:115], v[194:195]
	v_fma_f64 v[48:49], v[114:115], s[8:9], -v[194:195]
	v_fma_f64 v[114:115], v[134:135], s[2:3], -v[148:149]
	v_add_f64 v[122:123], v[132:133], v[122:123]
	v_fmac_f64_e32 v[190:191], s[24:25], v[140:141]
	v_add_f64 v[114:115], v[114:115], v[122:123]
	v_add_f64 v[184:185], v[190:191], v[184:185]
	v_mul_f64 v[190:191], v[144:145], s[26:27]
	v_add_f64 v[48:49], v[48:49], v[114:115]
	v_fma_f64 v[144:145], s[22:23], v[38:39], v[190:191]
	v_add_f64 v[202:203], v[54:55], v[202:203]
	v_mul_f64 v[182:183], v[182:183], s[38:39]
	v_fma_f64 v[38:39], v[38:39], s[22:23], -v[190:191]
	v_add_f64 v[46:47], v[46:47], v[48:49]
	v_fma_f64 v[198:199], s[10:11], v[138:139], v[150:151]
	v_add_f64 v[200:201], v[200:201], v[202:203]
	v_mul_f64 v[180:181], v[180:181], s[44:45]
	v_fma_f64 v[204:205], v[164:165], s[24:25], -v[182:183]
	v_add_f64 v[38:39], v[38:39], v[46:47]
	v_fmac_f64_e32 v[182:183], s[24:25], v[164:165]
	v_fma_f64 v[196:197], s[2:3], v[134:135], v[148:149]
	v_add_f64 v[198:199], v[198:199], v[200:201]
	v_mul_f64 v[178:179], v[178:179], s[48:49]
	v_fma_f64 v[202:203], v[162:163], s[18:19], -v[180:181]
	v_add_f64 v[48:49], v[28:29], v[38:39]
	v_fmac_f64_e32 v[180:181], s[18:19], v[162:163]
	v_add_f64 v[28:29], v[52:53], v[182:183]
	v_add_f64 v[196:197], v[196:197], v[198:199]
	v_mul_f64 v[176:177], v[176:177], s[42:43]
	v_fma_f64 v[200:201], v[160:161], s[10:11], -v[178:179]
	v_fmac_f64_e32 v[178:179], s[10:11], v[160:161]
	v_add_f64 v[28:29], v[180:181], v[28:29]
	v_add_f64 v[146:147], v[146:147], v[196:197]
	v_mul_f64 v[174:175], v[174:175], s[14:15]
	v_fma_f64 v[198:199], v[158:159], s[2:3], -v[176:177]
	;; [unrolled: 5-line block ×5, first 2 shown]
	v_fmac_f64_e32 v[170:171], s[22:23], v[142:143]
	v_add_f64 v[28:29], v[172:173], v[28:29]
	v_fma_f64 v[144:145], v[140:141], s[28:29], -v[166:167]
	v_fmac_f64_e32 v[166:167], s[28:29], v[140:141]
	v_add_f64 v[28:29], v[170:171], v[28:29]
	v_add_f64 v[46:47], v[166:167], v[28:29]
	v_add_f64 v[28:29], v[54:55], v[128:129]
	v_add_f64 v[28:29], v[136:137], v[28:29]
	v_add_f64 v[28:29], v[116:117], v[28:29]
	v_add_f64 v[28:29], v[50:51], v[28:29]
	v_add_f64 v[28:29], v[36:37], v[28:29]
	v_add_f64 v[26:27], v[26:27], v[28:29]
	v_add_f64 v[18:19], v[18:19], v[26:27]
	v_add_f64 v[8:9], v[8:9], v[18:19]
	v_add_f64 v[8:9], v[10:11], v[8:9]
	v_add_f64 v[10:11], v[52:53], v[126:127]
	v_add_f64 v[10:11], v[112:113], v[10:11]
	v_add_f64 v[10:11], v[44:45], v[10:11]
	v_add_f64 v[10:11], v[32:33], v[10:11]
	v_add_f64 v[10:11], v[22:23], v[10:11]
	v_add_f64 v[10:11], v[14:15], v[10:11]
	v_add_f64 v[4:5], v[4:5], v[10:11]
	v_add_f64 v[0:1], v[0:1], v[4:5]
	v_add_f64 v[0:1], v[2:3], v[0:1]
	v_add_f64 v[204:205], v[52:53], v[204:205]
	v_add_f64 v[8:9], v[16:17], v[8:9]
	v_add_f64 v[0:1], v[6:7], v[0:1]
	v_add_f64 v[202:203], v[202:203], v[204:205]
	v_add_f64 v[8:9], v[24:25], v[8:9]
	v_add_f64 v[0:1], v[12:13], v[0:1]
	v_add_f64 v[200:201], v[200:201], v[202:203]
	v_add_f64 v[8:9], v[34:35], v[8:9]
	v_add_f64 v[0:1], v[20:21], v[0:1]
	v_add_f64 v[198:199], v[198:199], v[200:201]
	v_add_f64 v[8:9], v[42:43], v[8:9]
	v_add_f64 v[0:1], v[30:31], v[0:1]
	v_add_f64 v[196:197], v[196:197], v[198:199]
	v_add_f64 v[8:9], v[110:111], v[8:9]
	v_add_f64 v[0:1], v[40:41], v[0:1]
	v_add_f64 v[192:193], v[192:193], v[196:197]
	v_add_f64 v[8:9], v[124:125], v[8:9]
	v_add_f64 v[0:1], v[108:109], v[0:1]
	v_add_f64 v[188:189], v[188:189], v[192:193]
	v_add_f64 v[8:9], v[120:121], v[8:9]
	v_add_f64 v[6:7], v[118:119], v[0:1]
	v_add_f64 v[144:145], v[144:145], v[188:189]
	ds_write_b128 v235, v[6:9]
	ds_write_b128 v232, v[46:49] offset:832
	ds_write_b128 v232, v[184:187] offset:1664
	;; [unrolled: 1-line block ×16, first 2 shown]
.LBB0_17:
	s_or_b64 exec, exec, s[0:1]
	s_waitcnt lgkmcnt(0)
	s_barrier
	ds_read_b128 v[0:3], v235
	v_mad_u64_u32 v[14:15], s[0:1], s6, v234, 0
	v_mov_b32_e32 v4, v15
	v_accvgpr_read_b32 v16, a34
	v_mad_u64_u32 v[4:5], s[0:1], s7, v234, v[4:5]
	v_accvgpr_read_b32 v18, a36
	v_accvgpr_read_b32 v19, a37
	v_mov_b32_e32 v15, v4
	ds_read_b128 v[4:7], v235 offset:1088
	v_accvgpr_read_b32 v17, a35
	s_waitcnt lgkmcnt(1)
	v_mul_f64 v[8:9], v[18:19], v[2:3]
	v_fmac_f64_e32 v[8:9], v[16:17], v[0:1]
	s_mov_b32 s0, 0x1288b013
	v_mul_f64 v[0:1], v[18:19], v[0:1]
	s_mov_b32 s1, 0x3f5288b0
	v_fma_f64 v[0:1], v[16:17], v[2:3], -v[0:1]
	v_accvgpr_read_b32 v16, a0
	v_mul_f64 v[10:11], v[0:1], s[0:1]
	v_mad_u64_u32 v[0:1], s[2:3], s4, v16, 0
	v_mov_b32_e32 v2, v1
	v_mov_b32_e32 v12, s12
	;; [unrolled: 1-line block ×3, first 2 shown]
	v_mad_u64_u32 v[2:3], s[2:3], s5, v16, v[2:3]
	v_mov_b32_e32 v1, v2
	v_lshl_add_u64 v[2:3], v[14:15], 4, v[12:13]
	v_mul_f64 v[8:9], v[8:9], s[0:1]
	v_lshl_add_u64 v[12:13], v[0:1], 4, v[2:3]
	global_store_dwordx4 v[12:13], v[8:11], off
	v_accvgpr_read_b32 v19, a5
	v_mov_b32_e32 v14, 0x440
	v_accvgpr_read_b32 v8, a26
	v_accvgpr_read_b32 v10, a28
	;; [unrolled: 1-line block ×4, first 2 shown]
	s_waitcnt lgkmcnt(0)
	v_mul_f64 v[0:1], v[10:11], v[6:7]
	v_mul_f64 v[2:3], v[10:11], v[4:5]
	v_fmac_f64_e32 v[0:1], v[8:9], v[4:5]
	v_fma_f64 v[2:3], v[8:9], v[6:7], -v[2:3]
	ds_read_b128 v[4:7], v235 offset:2176
	v_accvgpr_read_b32 v18, a4
	v_mad_u64_u32 v[12:13], s[2:3], s4, v14, v[12:13]
	v_accvgpr_read_b32 v17, a3
	v_accvgpr_read_b32 v16, a2
	s_waitcnt lgkmcnt(0)
	v_mul_f64 v[8:9], v[18:19], v[6:7]
	s_mul_i32 s2, s5, 0x440
	v_fmac_f64_e32 v[8:9], v[16:17], v[4:5]
	v_mul_f64 v[4:5], v[18:19], v[4:5]
	v_mul_f64 v[0:1], v[0:1], s[0:1]
	;; [unrolled: 1-line block ×3, first 2 shown]
	v_add_u32_e32 v13, s2, v13
	v_fma_f64 v[4:5], v[16:17], v[6:7], -v[4:5]
	global_store_dwordx4 v[12:13], v[0:3], off
	ds_read_b128 v[0:3], v235 offset:4352
	v_mul_f64 v[10:11], v[4:5], s[0:1]
	ds_read_b128 v[4:7], v232 offset:3264
	v_mad_u64_u32 v[12:13], s[6:7], s4, v14, v[12:13]
	v_accvgpr_read_b32 v19, a9
	v_mul_f64 v[8:9], v[8:9], s[0:1]
	v_add_u32_e32 v13, s2, v13
	v_accvgpr_read_b32 v18, a8
	global_store_dwordx4 v[12:13], v[8:11], off
	v_accvgpr_read_b32 v17, a7
	v_accvgpr_read_b32 v16, a6
	s_waitcnt lgkmcnt(0)
	v_mul_f64 v[8:9], v[18:19], v[6:7]
	v_fmac_f64_e32 v[8:9], v[16:17], v[4:5]
	v_mul_f64 v[4:5], v[18:19], v[4:5]
	v_fma_f64 v[4:5], v[16:17], v[6:7], -v[4:5]
	v_mad_u64_u32 v[12:13], s[6:7], s4, v14, v[12:13]
	v_mul_f64 v[8:9], v[8:9], s[0:1]
	v_mul_f64 v[10:11], v[4:5], s[0:1]
	v_add_u32_e32 v13, s2, v13
	global_store_dwordx4 v[12:13], v[8:11], off
	v_accvgpr_read_b32 v6, a42
	v_accvgpr_read_b32 v7, a43
	;; [unrolled: 1-line block ×4, first 2 shown]
	v_mul_f64 v[4:5], v[8:9], v[2:3]
	v_fmac_f64_e32 v[4:5], v[6:7], v[0:1]
	v_mul_f64 v[0:1], v[8:9], v[0:1]
	v_fma_f64 v[0:1], v[6:7], v[2:3], -v[0:1]
	v_mul_f64 v[6:7], v[0:1], s[0:1]
	ds_read_b128 v[0:3], v235 offset:5440
	v_mad_u64_u32 v[12:13], s[6:7], s4, v14, v[12:13]
	v_accvgpr_read_b32 v19, a17
	v_mul_f64 v[4:5], v[4:5], s[0:1]
	v_add_u32_e32 v13, s2, v13
	v_accvgpr_read_b32 v18, a16
	global_store_dwordx4 v[12:13], v[4:7], off
	ds_read_b128 v[4:7], v235 offset:6528
	v_accvgpr_read_b32 v17, a15
	v_accvgpr_read_b32 v16, a14
	s_waitcnt lgkmcnt(1)
	v_mul_f64 v[8:9], v[18:19], v[2:3]
	v_fmac_f64_e32 v[8:9], v[16:17], v[0:1]
	v_mul_f64 v[0:1], v[18:19], v[0:1]
	v_fma_f64 v[0:1], v[16:17], v[2:3], -v[0:1]
	v_mad_u64_u32 v[12:13], s[6:7], s4, v14, v[12:13]
	v_mul_f64 v[8:9], v[8:9], s[0:1]
	v_mul_f64 v[10:11], v[0:1], s[0:1]
	v_add_u32_e32 v13, s2, v13
	global_store_dwordx4 v[12:13], v[8:11], off
	v_mad_u64_u32 v[12:13], s[6:7], s4, v14, v[12:13]
	s_nop 0
	v_accvgpr_read_b32 v8, a38
	v_accvgpr_read_b32 v10, a40
	;; [unrolled: 1-line block ×4, first 2 shown]
	s_waitcnt lgkmcnt(0)
	v_mul_f64 v[0:1], v[10:11], v[6:7]
	v_mul_f64 v[2:3], v[10:11], v[4:5]
	v_fmac_f64_e32 v[0:1], v[8:9], v[4:5]
	v_fma_f64 v[2:3], v[8:9], v[6:7], -v[2:3]
	ds_read_b128 v[4:7], v235 offset:7616
	v_accvgpr_read_b32 v19, a13
	v_mul_f64 v[0:1], v[0:1], s[0:1]
	v_mul_f64 v[2:3], v[2:3], s[0:1]
	v_add_u32_e32 v13, s2, v13
	v_accvgpr_read_b32 v18, a12
	global_store_dwordx4 v[12:13], v[0:3], off
	ds_read_b128 v[0:3], v235 offset:8704
	v_accvgpr_read_b32 v17, a11
	v_accvgpr_read_b32 v16, a10
	s_waitcnt lgkmcnt(1)
	v_mul_f64 v[8:9], v[18:19], v[6:7]
	v_fmac_f64_e32 v[8:9], v[16:17], v[4:5]
	v_mul_f64 v[4:5], v[18:19], v[4:5]
	v_fma_f64 v[4:5], v[16:17], v[6:7], -v[4:5]
	v_mad_u64_u32 v[12:13], s[6:7], s4, v14, v[12:13]
	v_mul_f64 v[8:9], v[8:9], s[0:1]
	v_mul_f64 v[10:11], v[4:5], s[0:1]
	v_add_u32_e32 v13, s2, v13
	global_store_dwordx4 v[12:13], v[8:11], off
	v_accvgpr_read_b32 v6, a50
	v_accvgpr_read_b32 v7, a51
	;; [unrolled: 1-line block ×4, first 2 shown]
	s_waitcnt lgkmcnt(0)
	v_mul_f64 v[4:5], v[8:9], v[2:3]
	v_fmac_f64_e32 v[4:5], v[6:7], v[0:1]
	v_mul_f64 v[0:1], v[8:9], v[0:1]
	v_fma_f64 v[0:1], v[6:7], v[2:3], -v[0:1]
	v_mul_f64 v[6:7], v[0:1], s[0:1]
	ds_read_b128 v[0:3], v235 offset:9792
	v_mad_u64_u32 v[12:13], s[6:7], s4, v14, v[12:13]
	v_accvgpr_read_b32 v16, a22
	v_mul_f64 v[4:5], v[4:5], s[0:1]
	v_add_u32_e32 v13, s2, v13
	v_accvgpr_read_b32 v18, a24
	v_accvgpr_read_b32 v19, a25
	global_store_dwordx4 v[12:13], v[4:7], off
	ds_read_b128 v[4:7], v235 offset:10880
	v_accvgpr_read_b32 v17, a23
	s_waitcnt lgkmcnt(1)
	v_mul_f64 v[8:9], v[18:19], v[2:3]
	v_fmac_f64_e32 v[8:9], v[16:17], v[0:1]
	v_mul_f64 v[0:1], v[18:19], v[0:1]
	v_fma_f64 v[0:1], v[16:17], v[2:3], -v[0:1]
	v_mad_u64_u32 v[12:13], s[6:7], s4, v14, v[12:13]
	v_mul_f64 v[8:9], v[8:9], s[0:1]
	v_mul_f64 v[10:11], v[0:1], s[0:1]
	v_add_u32_e32 v13, s2, v13
	global_store_dwordx4 v[12:13], v[8:11], off
	v_mad_u64_u32 v[12:13], s[6:7], s4, v14, v[12:13]
	s_nop 0
	v_accvgpr_read_b32 v8, a46
	v_accvgpr_read_b32 v10, a48
	;; [unrolled: 1-line block ×4, first 2 shown]
	s_waitcnt lgkmcnt(0)
	v_mul_f64 v[0:1], v[10:11], v[6:7]
	v_mul_f64 v[2:3], v[10:11], v[4:5]
	v_fmac_f64_e32 v[0:1], v[8:9], v[4:5]
	v_fma_f64 v[2:3], v[8:9], v[6:7], -v[2:3]
	ds_read_b128 v[4:7], v235 offset:11968
	v_accvgpr_read_b32 v16, a18
	v_mul_f64 v[0:1], v[0:1], s[0:1]
	v_mul_f64 v[2:3], v[2:3], s[0:1]
	v_add_u32_e32 v13, s2, v13
	v_accvgpr_read_b32 v18, a20
	v_accvgpr_read_b32 v19, a21
	global_store_dwordx4 v[12:13], v[0:3], off
	ds_read_b128 v[0:3], v235 offset:13056
	v_accvgpr_read_b32 v17, a19
	s_waitcnt lgkmcnt(1)
	v_mul_f64 v[8:9], v[18:19], v[6:7]
	v_fmac_f64_e32 v[8:9], v[16:17], v[4:5]
	v_mul_f64 v[4:5], v[18:19], v[4:5]
	v_fma_f64 v[4:5], v[16:17], v[6:7], -v[4:5]
	v_mad_u64_u32 v[12:13], s[6:7], s4, v14, v[12:13]
	v_mul_f64 v[8:9], v[8:9], s[0:1]
	v_mul_f64 v[10:11], v[4:5], s[0:1]
	v_add_u32_e32 v13, s2, v13
	global_store_dwordx4 v[12:13], v[8:11], off
	v_accvgpr_read_b32 v6, a30
	v_accvgpr_read_b32 v7, a31
	;; [unrolled: 1-line block ×4, first 2 shown]
	s_waitcnt lgkmcnt(0)
	v_mul_f64 v[4:5], v[8:9], v[2:3]
	v_fmac_f64_e32 v[4:5], v[6:7], v[0:1]
	v_mul_f64 v[0:1], v[8:9], v[0:1]
	v_fma_f64 v[0:1], v[6:7], v[2:3], -v[0:1]
	v_mul_f64 v[4:5], v[4:5], s[0:1]
	v_mul_f64 v[6:7], v[0:1], s[0:1]
	v_mad_u64_u32 v[0:1], s[0:1], s4, v14, v[12:13]
	v_add_u32_e32 v1, s2, v1
	global_store_dwordx4 v[0:1], v[4:7], off
.LBB0_18:
	s_endpgm
	.section	.rodata,"a",@progbits
	.p2align	6, 0x0
	.amdhsa_kernel bluestein_single_fwd_len884_dim1_dp_op_CI_CI
		.amdhsa_group_segment_fixed_size 42432
		.amdhsa_private_segment_fixed_size 0
		.amdhsa_kernarg_size 104
		.amdhsa_user_sgpr_count 2
		.amdhsa_user_sgpr_dispatch_ptr 0
		.amdhsa_user_sgpr_queue_ptr 0
		.amdhsa_user_sgpr_kernarg_segment_ptr 1
		.amdhsa_user_sgpr_dispatch_id 0
		.amdhsa_user_sgpr_kernarg_preload_length 0
		.amdhsa_user_sgpr_kernarg_preload_offset 0
		.amdhsa_user_sgpr_private_segment_size 0
		.amdhsa_uses_dynamic_stack 0
		.amdhsa_enable_private_segment 0
		.amdhsa_system_sgpr_workgroup_id_x 1
		.amdhsa_system_sgpr_workgroup_id_y 0
		.amdhsa_system_sgpr_workgroup_id_z 0
		.amdhsa_system_sgpr_workgroup_info 0
		.amdhsa_system_vgpr_workitem_id 0
		.amdhsa_next_free_vgpr 510
		.amdhsa_next_free_sgpr 64
		.amdhsa_accum_offset 256
		.amdhsa_reserve_vcc 1
		.amdhsa_float_round_mode_32 0
		.amdhsa_float_round_mode_16_64 0
		.amdhsa_float_denorm_mode_32 3
		.amdhsa_float_denorm_mode_16_64 3
		.amdhsa_dx10_clamp 1
		.amdhsa_ieee_mode 1
		.amdhsa_fp16_overflow 0
		.amdhsa_tg_split 0
		.amdhsa_exception_fp_ieee_invalid_op 0
		.amdhsa_exception_fp_denorm_src 0
		.amdhsa_exception_fp_ieee_div_zero 0
		.amdhsa_exception_fp_ieee_overflow 0
		.amdhsa_exception_fp_ieee_underflow 0
		.amdhsa_exception_fp_ieee_inexact 0
		.amdhsa_exception_int_div_zero 0
	.end_amdhsa_kernel
	.text
.Lfunc_end0:
	.size	bluestein_single_fwd_len884_dim1_dp_op_CI_CI, .Lfunc_end0-bluestein_single_fwd_len884_dim1_dp_op_CI_CI
                                        ; -- End function
	.section	.AMDGPU.csdata,"",@progbits
; Kernel info:
; codeLenInByte = 31012
; NumSgprs: 70
; NumVgprs: 256
; NumAgprs: 254
; TotalNumVgprs: 510
; ScratchSize: 0
; MemoryBound: 0
; FloatMode: 240
; IeeeMode: 1
; LDSByteSize: 42432 bytes/workgroup (compile time only)
; SGPRBlocks: 8
; VGPRBlocks: 63
; NumSGPRsForWavesPerEU: 70
; NumVGPRsForWavesPerEU: 510
; AccumOffset: 256
; Occupancy: 1
; WaveLimiterHint : 1
; COMPUTE_PGM_RSRC2:SCRATCH_EN: 0
; COMPUTE_PGM_RSRC2:USER_SGPR: 2
; COMPUTE_PGM_RSRC2:TRAP_HANDLER: 0
; COMPUTE_PGM_RSRC2:TGID_X_EN: 1
; COMPUTE_PGM_RSRC2:TGID_Y_EN: 0
; COMPUTE_PGM_RSRC2:TGID_Z_EN: 0
; COMPUTE_PGM_RSRC2:TIDIG_COMP_CNT: 0
; COMPUTE_PGM_RSRC3_GFX90A:ACCUM_OFFSET: 63
; COMPUTE_PGM_RSRC3_GFX90A:TG_SPLIT: 0
	.text
	.p2alignl 6, 3212836864
	.fill 256, 4, 3212836864
	.type	__hip_cuid_3fe1967c2756e2da,@object ; @__hip_cuid_3fe1967c2756e2da
	.section	.bss,"aw",@nobits
	.globl	__hip_cuid_3fe1967c2756e2da
__hip_cuid_3fe1967c2756e2da:
	.byte	0                               ; 0x0
	.size	__hip_cuid_3fe1967c2756e2da, 1

	.ident	"AMD clang version 19.0.0git (https://github.com/RadeonOpenCompute/llvm-project roc-6.4.0 25133 c7fe45cf4b819c5991fe208aaa96edf142730f1d)"
	.section	".note.GNU-stack","",@progbits
	.addrsig
	.addrsig_sym __hip_cuid_3fe1967c2756e2da
	.amdgpu_metadata
---
amdhsa.kernels:
  - .agpr_count:     254
    .args:
      - .actual_access:  read_only
        .address_space:  global
        .offset:         0
        .size:           8
        .value_kind:     global_buffer
      - .actual_access:  read_only
        .address_space:  global
        .offset:         8
        .size:           8
        .value_kind:     global_buffer
      - .actual_access:  read_only
        .address_space:  global
        .offset:         16
        .size:           8
        .value_kind:     global_buffer
      - .actual_access:  read_only
        .address_space:  global
        .offset:         24
        .size:           8
        .value_kind:     global_buffer
      - .actual_access:  read_only
        .address_space:  global
        .offset:         32
        .size:           8
        .value_kind:     global_buffer
      - .offset:         40
        .size:           8
        .value_kind:     by_value
      - .address_space:  global
        .offset:         48
        .size:           8
        .value_kind:     global_buffer
      - .address_space:  global
        .offset:         56
        .size:           8
        .value_kind:     global_buffer
      - .address_space:  global
        .offset:         64
        .size:           8
        .value_kind:     global_buffer
      - .address_space:  global
        .offset:         72
        .size:           8
        .value_kind:     global_buffer
      - .offset:         80
        .size:           4
        .value_kind:     by_value
      - .address_space:  global
        .offset:         88
        .size:           8
        .value_kind:     global_buffer
      - .address_space:  global
        .offset:         96
        .size:           8
        .value_kind:     global_buffer
    .group_segment_fixed_size: 42432
    .kernarg_segment_align: 8
    .kernarg_segment_size: 104
    .language:       OpenCL C
    .language_version:
      - 2
      - 0
    .max_flat_workgroup_size: 204
    .name:           bluestein_single_fwd_len884_dim1_dp_op_CI_CI
    .private_segment_fixed_size: 0
    .sgpr_count:     70
    .sgpr_spill_count: 0
    .symbol:         bluestein_single_fwd_len884_dim1_dp_op_CI_CI.kd
    .uniform_work_group_size: 1
    .uses_dynamic_stack: false
    .vgpr_count:     510
    .vgpr_spill_count: 0
    .wavefront_size: 64
amdhsa.target:   amdgcn-amd-amdhsa--gfx950
amdhsa.version:
  - 1
  - 2
...

	.end_amdgpu_metadata
